;; amdgpu-corpus repo=ROCm/rocBLAS kind=compiled arch=gfx906 opt=O3
	.amdgcn_target "amdgcn-amd-amdhsa--gfx906"
	.amdhsa_code_object_version 6
	.section	.text._ZL18rocblas_spr_kernelILi64ELi16ELi2E24rocblas_internal_val_ptrIfEPKfPfEvbbiT2_T3_lllT4_lli,"axG",@progbits,_ZL18rocblas_spr_kernelILi64ELi16ELi2E24rocblas_internal_val_ptrIfEPKfPfEvbbiT2_T3_lllT4_lli,comdat
	.globl	_ZL18rocblas_spr_kernelILi64ELi16ELi2E24rocblas_internal_val_ptrIfEPKfPfEvbbiT2_T3_lllT4_lli ; -- Begin function _ZL18rocblas_spr_kernelILi64ELi16ELi2E24rocblas_internal_val_ptrIfEPKfPfEvbbiT2_T3_lllT4_lli
	.p2align	8
	.type	_ZL18rocblas_spr_kernelILi64ELi16ELi2E24rocblas_internal_val_ptrIfEPKfPfEvbbiT2_T3_lllT4_lli,@function
_ZL18rocblas_spr_kernelILi64ELi16ELi2E24rocblas_internal_val_ptrIfEPKfPfEvbbiT2_T3_lllT4_lli: ; @_ZL18rocblas_spr_kernelILi64ELi16ELi2E24rocblas_internal_val_ptrIfEPKfPfEvbbiT2_T3_lllT4_lli
; %bb.0:
	s_load_dword s0, s[4:5], 0x0
	s_load_dwordx16 s[12:27], s[4:5], 0x8
	s_waitcnt lgkmcnt(0)
	s_bitcmp0_b32 s0, 0
	s_cbranch_scc0 .LBB0_2
; %bb.1:
	s_load_dword s9, s[12:13], 0x0
	s_cbranch_execz .LBB0_3
	s_branch .LBB0_4
.LBB0_2:
                                        ; implicit-def: $sgpr9
.LBB0_3:
	s_waitcnt lgkmcnt(0)
	s_mov_b32 s9, s12
.LBB0_4:
	s_waitcnt lgkmcnt(0)
	v_cmp_eq_f32_e64 s[0:1], s9, 0
	s_and_b64 vcc, exec, s[0:1]
	s_cbranch_vccnz .LBB0_21
; %bb.5:
	s_load_dwordx2 s[4:5], s[4:5], 0x0
	s_mov_b64 s[0:1], -1
	v_lshl_add_u32 v5, s6, 7, v0
	v_lshl_add_u32 v2, s7, 4, v1
                                        ; implicit-def: $vgpr0
	s_waitcnt lgkmcnt(0)
	s_bitcmp1_b32 s4, 8
	s_cselect_b64 s[2:3], -1, 0
	s_xor_b64 s[10:11], s[2:3], -1
	s_and_b64 vcc, exec, s[10:11]
	s_cbranch_vccz .LBB0_7
; %bb.6:
	s_lshl_b32 s0, s5, 1
	v_sub_u32_e32 v0, s0, v2
	v_mad_u64_u32 v[0:1], s[0:1], v2, v0, v[2:3]
	v_sub_u32_e32 v1, v5, v2
	s_mov_b64 s[0:1], 0
	v_lshrrev_b32_e32 v3, 31, v0
	v_add_u32_e32 v0, v0, v3
	v_ashrrev_i32_e32 v0, 1, v0
	v_add_u32_e32 v0, v1, v0
.LBB0_7:
	s_andn2_b64 vcc, exec, s[0:1]
	s_cbranch_vccnz .LBB0_9
; %bb.8:
	v_mad_u64_u32 v[0:1], s[0:1], v2, v2, v[2:3]
	v_lshrrev_b32_e32 v1, 31, v0
	v_add_u32_e32 v0, v0, v1
	v_ashrrev_i32_e32 v0, 1, v0
	v_add_u32_e32 v0, v0, v5
.LBB0_9:
	s_mul_i32 s0, s27, s8
	s_mul_hi_u32 s1, s26, s8
	s_add_i32 s1, s1, s0
	s_mul_i32 s0, s26, s8
	s_lshl_b64 s[0:1], s[0:1], 2
	s_add_u32 s2, s22, s0
	s_addc_u32 s3, s23, s1
	s_lshl_b64 s[0:1], s[24:25], 2
	s_add_u32 s12, s2, s0
	s_addc_u32 s13, s3, s1
	s_mul_i32 s0, s21, s8
	s_mul_hi_u32 s1, s20, s8
	v_ashrrev_i32_e32 v1, 31, v2
	s_add_i32 s1, s1, s0
	s_mul_i32 s0, s20, s8
	v_mul_lo_u32 v6, s19, v2
	v_mul_lo_u32 v1, s18, v1
	v_mad_u64_u32 v[3:4], s[2:3], s18, v2, 0
	s_lshl_b64 s[0:1], s[0:1], 2
	s_add_u32 s4, s14, s0
	s_addc_u32 s6, s15, s1
	s_lshl_b64 s[0:1], s[16:17], 2
	s_add_u32 s8, s4, s0
	v_add3_u32 v4, v4, v1, v6
	s_addc_u32 s14, s6, s1
	v_lshlrev_b64 v[3:4], 2, v[3:4]
	v_cmp_le_i32_e64 s[0:1], s5, v2
	v_mov_b32_e32 v1, s14
	s_and_b64 vcc, exec, s[10:11]
	s_cbranch_vccz .LBB0_11
; %bb.10:
	v_cmp_gt_i32_e32 vcc, s5, v5
	v_cmp_ge_i32_e64 s[2:3], v5, v2
	s_and_b64 s[6:7], s[2:3], vcc
	s_and_b64 s[6:7], s[6:7], exec
	v_add_co_u32_e64 v3, s[2:3], s8, v3
	v_addc_co_u32_e64 v4, s[2:3], v1, v4, s[2:3]
	s_cbranch_execz .LBB0_12
	s_branch .LBB0_13
.LBB0_11:
	s_mov_b64 s[6:7], 0
	v_add_co_u32_e64 v3, s[2:3], s8, v3
	v_addc_co_u32_e64 v4, s[2:3], v1, v4, s[2:3]
.LBB0_12:
	v_cmp_le_i32_e32 vcc, v5, v2
	s_xor_b64 s[2:3], s[0:1], -1
	s_and_b64 s[2:3], vcc, s[2:3]
	s_andn2_b64 s[6:7], s[6:7], exec
	s_and_b64 s[2:3], s[2:3], exec
	s_or_b64 s[6:7], s[6:7], s[2:3]
.LBB0_13:
	v_ashrrev_i32_e32 v1, 31, v0
	s_and_saveexec_b64 s[2:3], s[6:7]
	s_cbranch_execnz .LBB0_16
; %bb.14:
	s_or_b64 exec, exec, s[2:3]
	s_andn2_b64 vcc, exec, s[10:11]
	v_add_u32_e32 v5, 64, v5
	s_cbranch_vccnz .LBB0_17
.LBB0_15:
	v_cmp_gt_i32_e32 vcc, s5, v5
	v_cmp_le_i32_e64 s[2:3], v2, v5
	s_and_b64 s[2:3], s[2:3], vcc
	s_and_b64 s[2:3], s[2:3], exec
	s_cbranch_execz .LBB0_18
	s_branch .LBB0_19
.LBB0_16:
	v_ashrrev_i32_e32 v8, 31, v5
	v_mul_lo_u32 v9, s19, v5
	v_mad_u64_u32 v[6:7], s[6:7], s18, v5, 0
	v_mul_lo_u32 v8, s18, v8
	v_mov_b32_e32 v10, s13
	v_add3_u32 v7, v7, v8, v9
	v_lshlrev_b64 v[6:7], 2, v[6:7]
	v_mov_b32_e32 v8, s14
	v_add_co_u32_e32 v6, vcc, s8, v6
	v_addc_co_u32_e32 v7, vcc, v8, v7, vcc
	global_load_dword v8, v[6:7], off
	global_load_dword v9, v[3:4], off
	v_lshlrev_b64 v[6:7], 2, v[0:1]
	v_add_co_u32_e32 v6, vcc, s12, v6
	v_addc_co_u32_e32 v7, vcc, v10, v7, vcc
	global_load_dword v10, v[6:7], off
	s_waitcnt vmcnt(2)
	v_mul_f32_e32 v8, s9, v8
	s_waitcnt vmcnt(0)
	v_fmac_f32_e32 v10, v8, v9
	global_store_dword v[6:7], v10, off
	s_or_b64 exec, exec, s[2:3]
	s_andn2_b64 vcc, exec, s[10:11]
	v_add_u32_e32 v5, 64, v5
	s_cbranch_vccz .LBB0_15
.LBB0_17:
	s_mov_b64 s[2:3], 0
.LBB0_18:
	v_cmp_le_i32_e32 vcc, v5, v2
	s_xor_b64 s[0:1], s[0:1], -1
	s_and_b64 s[0:1], s[0:1], vcc
	s_andn2_b64 s[2:3], s[2:3], exec
	s_and_b64 s[0:1], s[0:1], exec
	s_or_b64 s[2:3], s[2:3], s[0:1]
.LBB0_19:
	s_and_saveexec_b64 s[0:1], s[2:3]
	s_cbranch_execz .LBB0_21
; %bb.20:
	v_ashrrev_i32_e32 v2, 31, v5
	v_mul_lo_u32 v7, s19, v5
	v_mad_u64_u32 v[5:6], s[0:1], s18, v5, 0
	v_mul_lo_u32 v2, s18, v2
	v_lshlrev_b64 v[0:1], 2, v[0:1]
	v_add3_u32 v6, v6, v2, v7
	v_lshlrev_b64 v[5:6], 2, v[5:6]
	v_mov_b32_e32 v2, s14
	v_add_co_u32_e32 v5, vcc, s8, v5
	v_addc_co_u32_e32 v6, vcc, v2, v6, vcc
	global_load_dword v2, v[5:6], off
	global_load_dword v7, v[3:4], off
	v_mov_b32_e32 v3, s13
	v_add_co_u32_e32 v0, vcc, s12, v0
	v_addc_co_u32_e32 v1, vcc, v3, v1, vcc
	global_load_dword v3, v[0:1], off offset:256
	s_waitcnt vmcnt(2)
	v_mul_f32_e32 v2, s9, v2
	s_waitcnt vmcnt(0)
	v_fmac_f32_e32 v3, v2, v7
	global_store_dword v[0:1], v3, off offset:256
.LBB0_21:
	s_endpgm
	.section	.rodata,"a",@progbits
	.p2align	6, 0x0
	.amdhsa_kernel _ZL18rocblas_spr_kernelILi64ELi16ELi2E24rocblas_internal_val_ptrIfEPKfPfEvbbiT2_T3_lllT4_lli
		.amdhsa_group_segment_fixed_size 0
		.amdhsa_private_segment_fixed_size 0
		.amdhsa_kernarg_size 76
		.amdhsa_user_sgpr_count 6
		.amdhsa_user_sgpr_private_segment_buffer 1
		.amdhsa_user_sgpr_dispatch_ptr 0
		.amdhsa_user_sgpr_queue_ptr 0
		.amdhsa_user_sgpr_kernarg_segment_ptr 1
		.amdhsa_user_sgpr_dispatch_id 0
		.amdhsa_user_sgpr_flat_scratch_init 0
		.amdhsa_user_sgpr_private_segment_size 0
		.amdhsa_uses_dynamic_stack 0
		.amdhsa_system_sgpr_private_segment_wavefront_offset 0
		.amdhsa_system_sgpr_workgroup_id_x 1
		.amdhsa_system_sgpr_workgroup_id_y 1
		.amdhsa_system_sgpr_workgroup_id_z 1
		.amdhsa_system_sgpr_workgroup_info 0
		.amdhsa_system_vgpr_workitem_id 1
		.amdhsa_next_free_vgpr 11
		.amdhsa_next_free_sgpr 28
		.amdhsa_reserve_vcc 1
		.amdhsa_reserve_flat_scratch 0
		.amdhsa_float_round_mode_32 0
		.amdhsa_float_round_mode_16_64 0
		.amdhsa_float_denorm_mode_32 3
		.amdhsa_float_denorm_mode_16_64 3
		.amdhsa_dx10_clamp 1
		.amdhsa_ieee_mode 1
		.amdhsa_fp16_overflow 0
		.amdhsa_exception_fp_ieee_invalid_op 0
		.amdhsa_exception_fp_denorm_src 0
		.amdhsa_exception_fp_ieee_div_zero 0
		.amdhsa_exception_fp_ieee_overflow 0
		.amdhsa_exception_fp_ieee_underflow 0
		.amdhsa_exception_fp_ieee_inexact 0
		.amdhsa_exception_int_div_zero 0
	.end_amdhsa_kernel
	.section	.text._ZL18rocblas_spr_kernelILi64ELi16ELi2E24rocblas_internal_val_ptrIfEPKfPfEvbbiT2_T3_lllT4_lli,"axG",@progbits,_ZL18rocblas_spr_kernelILi64ELi16ELi2E24rocblas_internal_val_ptrIfEPKfPfEvbbiT2_T3_lllT4_lli,comdat
.Lfunc_end0:
	.size	_ZL18rocblas_spr_kernelILi64ELi16ELi2E24rocblas_internal_val_ptrIfEPKfPfEvbbiT2_T3_lllT4_lli, .Lfunc_end0-_ZL18rocblas_spr_kernelILi64ELi16ELi2E24rocblas_internal_val_ptrIfEPKfPfEvbbiT2_T3_lllT4_lli
                                        ; -- End function
	.set _ZL18rocblas_spr_kernelILi64ELi16ELi2E24rocblas_internal_val_ptrIfEPKfPfEvbbiT2_T3_lllT4_lli.num_vgpr, 11
	.set _ZL18rocblas_spr_kernelILi64ELi16ELi2E24rocblas_internal_val_ptrIfEPKfPfEvbbiT2_T3_lllT4_lli.num_agpr, 0
	.set _ZL18rocblas_spr_kernelILi64ELi16ELi2E24rocblas_internal_val_ptrIfEPKfPfEvbbiT2_T3_lllT4_lli.numbered_sgpr, 28
	.set _ZL18rocblas_spr_kernelILi64ELi16ELi2E24rocblas_internal_val_ptrIfEPKfPfEvbbiT2_T3_lllT4_lli.num_named_barrier, 0
	.set _ZL18rocblas_spr_kernelILi64ELi16ELi2E24rocblas_internal_val_ptrIfEPKfPfEvbbiT2_T3_lllT4_lli.private_seg_size, 0
	.set _ZL18rocblas_spr_kernelILi64ELi16ELi2E24rocblas_internal_val_ptrIfEPKfPfEvbbiT2_T3_lllT4_lli.uses_vcc, 1
	.set _ZL18rocblas_spr_kernelILi64ELi16ELi2E24rocblas_internal_val_ptrIfEPKfPfEvbbiT2_T3_lllT4_lli.uses_flat_scratch, 0
	.set _ZL18rocblas_spr_kernelILi64ELi16ELi2E24rocblas_internal_val_ptrIfEPKfPfEvbbiT2_T3_lllT4_lli.has_dyn_sized_stack, 0
	.set _ZL18rocblas_spr_kernelILi64ELi16ELi2E24rocblas_internal_val_ptrIfEPKfPfEvbbiT2_T3_lllT4_lli.has_recursion, 0
	.set _ZL18rocblas_spr_kernelILi64ELi16ELi2E24rocblas_internal_val_ptrIfEPKfPfEvbbiT2_T3_lllT4_lli.has_indirect_call, 0
	.section	.AMDGPU.csdata,"",@progbits
; Kernel info:
; codeLenInByte = 788
; TotalNumSgprs: 32
; NumVgprs: 11
; ScratchSize: 0
; MemoryBound: 0
; FloatMode: 240
; IeeeMode: 1
; LDSByteSize: 0 bytes/workgroup (compile time only)
; SGPRBlocks: 3
; VGPRBlocks: 2
; NumSGPRsForWavesPerEU: 32
; NumVGPRsForWavesPerEU: 11
; Occupancy: 10
; WaveLimiterHint : 0
; COMPUTE_PGM_RSRC2:SCRATCH_EN: 0
; COMPUTE_PGM_RSRC2:USER_SGPR: 6
; COMPUTE_PGM_RSRC2:TRAP_HANDLER: 0
; COMPUTE_PGM_RSRC2:TGID_X_EN: 1
; COMPUTE_PGM_RSRC2:TGID_Y_EN: 1
; COMPUTE_PGM_RSRC2:TGID_Z_EN: 1
; COMPUTE_PGM_RSRC2:TIDIG_COMP_CNT: 1
	.section	.text._ZL18rocblas_spr_kernelILi64ELi16ELi2E24rocblas_internal_val_ptrIdEPKdPdEvbbiT2_T3_lllT4_lli,"axG",@progbits,_ZL18rocblas_spr_kernelILi64ELi16ELi2E24rocblas_internal_val_ptrIdEPKdPdEvbbiT2_T3_lllT4_lli,comdat
	.globl	_ZL18rocblas_spr_kernelILi64ELi16ELi2E24rocblas_internal_val_ptrIdEPKdPdEvbbiT2_T3_lllT4_lli ; -- Begin function _ZL18rocblas_spr_kernelILi64ELi16ELi2E24rocblas_internal_val_ptrIdEPKdPdEvbbiT2_T3_lllT4_lli
	.p2align	8
	.type	_ZL18rocblas_spr_kernelILi64ELi16ELi2E24rocblas_internal_val_ptrIdEPKdPdEvbbiT2_T3_lllT4_lli,@function
_ZL18rocblas_spr_kernelILi64ELi16ELi2E24rocblas_internal_val_ptrIdEPKdPdEvbbiT2_T3_lllT4_lli: ; @_ZL18rocblas_spr_kernelILi64ELi16ELi2E24rocblas_internal_val_ptrIdEPKdPdEvbbiT2_T3_lllT4_lli
; %bb.0:
	s_load_dword s0, s[4:5], 0x0
	s_load_dwordx16 s[12:27], s[4:5], 0x8
	s_waitcnt lgkmcnt(0)
	s_bitcmp1_b32 s0, 0
	s_cselect_b64 s[0:1], -1, 0
	v_mov_b32_e32 v2, s12
	s_and_b64 vcc, exec, s[0:1]
	v_mov_b32_e32 v3, s13
	s_cbranch_vccnz .LBB1_2
; %bb.1:
	v_mov_b32_e32 v2, s12
	v_mov_b32_e32 v3, s13
	flat_load_dwordx2 v[2:3], v[2:3]
.LBB1_2:
	s_waitcnt vmcnt(0) lgkmcnt(0)
	v_cmp_neq_f64_e32 vcc, 0, v[2:3]
	s_and_saveexec_b64 s[0:1], vcc
	s_cbranch_execz .LBB1_19
; %bb.3:
	s_load_dwordx2 s[4:5], s[4:5], 0x0
	s_mov_b64 s[0:1], -1
	v_lshl_add_u32 v7, s6, 7, v0
	v_lshl_add_u32 v4, s7, 4, v1
                                        ; implicit-def: $vgpr0
	s_waitcnt lgkmcnt(0)
	s_bitcmp1_b32 s4, 8
	s_cselect_b64 s[2:3], -1, 0
	s_xor_b64 s[10:11], s[2:3], -1
	s_and_b64 vcc, exec, s[10:11]
	s_cbranch_vccz .LBB1_5
; %bb.4:
	s_lshl_b32 s0, s5, 1
	v_sub_u32_e32 v0, s0, v4
	v_mad_u64_u32 v[0:1], s[0:1], v4, v0, v[4:5]
	v_sub_u32_e32 v1, v7, v4
	s_mov_b64 s[0:1], 0
	v_lshrrev_b32_e32 v5, 31, v0
	v_add_u32_e32 v0, v0, v5
	v_ashrrev_i32_e32 v0, 1, v0
	v_add_u32_e32 v0, v1, v0
.LBB1_5:
	s_andn2_b64 vcc, exec, s[0:1]
	s_cbranch_vccnz .LBB1_7
; %bb.6:
	v_mad_u64_u32 v[0:1], s[0:1], v4, v4, v[4:5]
	v_lshrrev_b32_e32 v1, 31, v0
	v_add_u32_e32 v0, v0, v1
	v_ashrrev_i32_e32 v0, 1, v0
	v_add_u32_e32 v0, v0, v7
.LBB1_7:
	s_mul_i32 s0, s27, s8
	s_mul_hi_u32 s1, s26, s8
	s_add_i32 s1, s1, s0
	s_mul_i32 s0, s26, s8
	s_lshl_b64 s[0:1], s[0:1], 3
	s_add_u32 s2, s22, s0
	s_addc_u32 s3, s23, s1
	s_lshl_b64 s[0:1], s[24:25], 3
	s_add_u32 s9, s2, s0
	s_addc_u32 s12, s3, s1
	s_mul_i32 s0, s21, s8
	s_mul_hi_u32 s1, s20, s8
	v_ashrrev_i32_e32 v1, 31, v4
	s_add_i32 s1, s1, s0
	s_mul_i32 s0, s20, s8
	v_mul_lo_u32 v8, s19, v4
	v_mul_lo_u32 v1, s18, v1
	v_mad_u64_u32 v[5:6], s[2:3], s18, v4, 0
	s_lshl_b64 s[0:1], s[0:1], 3
	s_add_u32 s4, s14, s0
	s_addc_u32 s6, s15, s1
	s_lshl_b64 s[0:1], s[16:17], 3
	s_add_u32 s8, s4, s0
	v_add3_u32 v6, v6, v1, v8
	s_addc_u32 s13, s6, s1
	v_lshlrev_b64 v[5:6], 3, v[5:6]
	v_cmp_le_i32_e64 s[0:1], s5, v4
	v_mov_b32_e32 v1, s13
	s_and_b64 vcc, exec, s[10:11]
	s_cbranch_vccz .LBB1_9
; %bb.8:
	v_cmp_gt_i32_e32 vcc, s5, v7
	v_cmp_ge_i32_e64 s[2:3], v7, v4
	s_and_b64 s[6:7], s[2:3], vcc
	s_and_b64 s[6:7], s[6:7], exec
	v_add_co_u32_e64 v5, s[2:3], s8, v5
	v_addc_co_u32_e64 v6, s[2:3], v1, v6, s[2:3]
	s_cbranch_execz .LBB1_10
	s_branch .LBB1_11
.LBB1_9:
	s_mov_b64 s[6:7], 0
	v_add_co_u32_e64 v5, s[2:3], s8, v5
	v_addc_co_u32_e64 v6, s[2:3], v1, v6, s[2:3]
.LBB1_10:
	v_cmp_le_i32_e32 vcc, v7, v4
	s_xor_b64 s[2:3], s[0:1], -1
	s_and_b64 s[2:3], vcc, s[2:3]
	s_andn2_b64 s[6:7], s[6:7], exec
	s_and_b64 s[2:3], s[2:3], exec
	s_or_b64 s[6:7], s[6:7], s[2:3]
.LBB1_11:
	v_ashrrev_i32_e32 v1, 31, v0
	s_and_saveexec_b64 s[2:3], s[6:7]
	s_cbranch_execnz .LBB1_14
; %bb.12:
	s_or_b64 exec, exec, s[2:3]
	s_andn2_b64 vcc, exec, s[10:11]
	v_add_u32_e32 v7, 64, v7
	s_cbranch_vccnz .LBB1_15
.LBB1_13:
	v_cmp_gt_i32_e32 vcc, s5, v7
	v_cmp_le_i32_e64 s[2:3], v4, v7
	s_and_b64 s[2:3], s[2:3], vcc
	s_and_b64 s[2:3], s[2:3], exec
	s_cbranch_execz .LBB1_16
	s_branch .LBB1_17
.LBB1_14:
	v_ashrrev_i32_e32 v10, 31, v7
	v_mul_lo_u32 v11, s19, v7
	v_mad_u64_u32 v[8:9], s[6:7], s18, v7, 0
	v_mul_lo_u32 v10, s18, v10
	v_mov_b32_e32 v14, s12
	v_add3_u32 v9, v9, v10, v11
	v_lshlrev_b64 v[8:9], 3, v[8:9]
	v_mov_b32_e32 v10, s13
	v_add_co_u32_e32 v8, vcc, s8, v8
	v_addc_co_u32_e32 v9, vcc, v10, v9, vcc
	global_load_dwordx2 v[10:11], v[8:9], off
	global_load_dwordx2 v[12:13], v[5:6], off
	v_lshlrev_b64 v[8:9], 3, v[0:1]
	v_add_co_u32_e32 v8, vcc, s9, v8
	v_addc_co_u32_e32 v9, vcc, v14, v9, vcc
	global_load_dwordx2 v[14:15], v[8:9], off
	s_waitcnt vmcnt(2)
	v_mul_f64 v[10:11], v[2:3], v[10:11]
	s_waitcnt vmcnt(0)
	v_fma_f64 v[10:11], v[10:11], v[12:13], v[14:15]
	global_store_dwordx2 v[8:9], v[10:11], off
	s_or_b64 exec, exec, s[2:3]
	s_andn2_b64 vcc, exec, s[10:11]
	v_add_u32_e32 v7, 64, v7
	s_cbranch_vccz .LBB1_13
.LBB1_15:
	s_mov_b64 s[2:3], 0
.LBB1_16:
	v_cmp_le_i32_e32 vcc, v7, v4
	s_xor_b64 s[0:1], s[0:1], -1
	s_and_b64 s[0:1], s[0:1], vcc
	s_andn2_b64 s[2:3], s[2:3], exec
	s_and_b64 s[0:1], s[0:1], exec
	s_or_b64 s[2:3], s[2:3], s[0:1]
.LBB1_17:
	s_and_b64 exec, exec, s[2:3]
	s_cbranch_execz .LBB1_19
; %bb.18:
	v_ashrrev_i32_e32 v4, 31, v7
	v_mul_lo_u32 v9, s19, v7
	v_mad_u64_u32 v[7:8], s[0:1], s18, v7, 0
	v_mul_lo_u32 v4, s18, v4
	v_lshlrev_b64 v[0:1], 3, v[0:1]
	v_add3_u32 v8, v8, v4, v9
	v_lshlrev_b64 v[7:8], 3, v[7:8]
	v_mov_b32_e32 v4, s13
	v_add_co_u32_e32 v7, vcc, s8, v7
	v_addc_co_u32_e32 v8, vcc, v4, v8, vcc
	global_load_dwordx2 v[9:10], v[7:8], off
	global_load_dwordx2 v[11:12], v[5:6], off
	v_mov_b32_e32 v4, s12
	v_add_co_u32_e32 v0, vcc, s9, v0
	v_addc_co_u32_e32 v1, vcc, v4, v1, vcc
	global_load_dwordx2 v[4:5], v[0:1], off offset:512
	s_waitcnt vmcnt(2)
	v_mul_f64 v[2:3], v[2:3], v[9:10]
	s_waitcnt vmcnt(0)
	v_fma_f64 v[2:3], v[2:3], v[11:12], v[4:5]
	global_store_dwordx2 v[0:1], v[2:3], off offset:512
.LBB1_19:
	s_endpgm
	.section	.rodata,"a",@progbits
	.p2align	6, 0x0
	.amdhsa_kernel _ZL18rocblas_spr_kernelILi64ELi16ELi2E24rocblas_internal_val_ptrIdEPKdPdEvbbiT2_T3_lllT4_lli
		.amdhsa_group_segment_fixed_size 0
		.amdhsa_private_segment_fixed_size 0
		.amdhsa_kernarg_size 76
		.amdhsa_user_sgpr_count 6
		.amdhsa_user_sgpr_private_segment_buffer 1
		.amdhsa_user_sgpr_dispatch_ptr 0
		.amdhsa_user_sgpr_queue_ptr 0
		.amdhsa_user_sgpr_kernarg_segment_ptr 1
		.amdhsa_user_sgpr_dispatch_id 0
		.amdhsa_user_sgpr_flat_scratch_init 0
		.amdhsa_user_sgpr_private_segment_size 0
		.amdhsa_uses_dynamic_stack 0
		.amdhsa_system_sgpr_private_segment_wavefront_offset 0
		.amdhsa_system_sgpr_workgroup_id_x 1
		.amdhsa_system_sgpr_workgroup_id_y 1
		.amdhsa_system_sgpr_workgroup_id_z 1
		.amdhsa_system_sgpr_workgroup_info 0
		.amdhsa_system_vgpr_workitem_id 1
		.amdhsa_next_free_vgpr 16
		.amdhsa_next_free_sgpr 28
		.amdhsa_reserve_vcc 1
		.amdhsa_reserve_flat_scratch 0
		.amdhsa_float_round_mode_32 0
		.amdhsa_float_round_mode_16_64 0
		.amdhsa_float_denorm_mode_32 3
		.amdhsa_float_denorm_mode_16_64 3
		.amdhsa_dx10_clamp 1
		.amdhsa_ieee_mode 1
		.amdhsa_fp16_overflow 0
		.amdhsa_exception_fp_ieee_invalid_op 0
		.amdhsa_exception_fp_denorm_src 0
		.amdhsa_exception_fp_ieee_div_zero 0
		.amdhsa_exception_fp_ieee_overflow 0
		.amdhsa_exception_fp_ieee_underflow 0
		.amdhsa_exception_fp_ieee_inexact 0
		.amdhsa_exception_int_div_zero 0
	.end_amdhsa_kernel
	.section	.text._ZL18rocblas_spr_kernelILi64ELi16ELi2E24rocblas_internal_val_ptrIdEPKdPdEvbbiT2_T3_lllT4_lli,"axG",@progbits,_ZL18rocblas_spr_kernelILi64ELi16ELi2E24rocblas_internal_val_ptrIdEPKdPdEvbbiT2_T3_lllT4_lli,comdat
.Lfunc_end1:
	.size	_ZL18rocblas_spr_kernelILi64ELi16ELi2E24rocblas_internal_val_ptrIdEPKdPdEvbbiT2_T3_lllT4_lli, .Lfunc_end1-_ZL18rocblas_spr_kernelILi64ELi16ELi2E24rocblas_internal_val_ptrIdEPKdPdEvbbiT2_T3_lllT4_lli
                                        ; -- End function
	.set _ZL18rocblas_spr_kernelILi64ELi16ELi2E24rocblas_internal_val_ptrIdEPKdPdEvbbiT2_T3_lllT4_lli.num_vgpr, 16
	.set _ZL18rocblas_spr_kernelILi64ELi16ELi2E24rocblas_internal_val_ptrIdEPKdPdEvbbiT2_T3_lllT4_lli.num_agpr, 0
	.set _ZL18rocblas_spr_kernelILi64ELi16ELi2E24rocblas_internal_val_ptrIdEPKdPdEvbbiT2_T3_lllT4_lli.numbered_sgpr, 28
	.set _ZL18rocblas_spr_kernelILi64ELi16ELi2E24rocblas_internal_val_ptrIdEPKdPdEvbbiT2_T3_lllT4_lli.num_named_barrier, 0
	.set _ZL18rocblas_spr_kernelILi64ELi16ELi2E24rocblas_internal_val_ptrIdEPKdPdEvbbiT2_T3_lllT4_lli.private_seg_size, 0
	.set _ZL18rocblas_spr_kernelILi64ELi16ELi2E24rocblas_internal_val_ptrIdEPKdPdEvbbiT2_T3_lllT4_lli.uses_vcc, 1
	.set _ZL18rocblas_spr_kernelILi64ELi16ELi2E24rocblas_internal_val_ptrIdEPKdPdEvbbiT2_T3_lllT4_lli.uses_flat_scratch, 0
	.set _ZL18rocblas_spr_kernelILi64ELi16ELi2E24rocblas_internal_val_ptrIdEPKdPdEvbbiT2_T3_lllT4_lli.has_dyn_sized_stack, 0
	.set _ZL18rocblas_spr_kernelILi64ELi16ELi2E24rocblas_internal_val_ptrIdEPKdPdEvbbiT2_T3_lllT4_lli.has_recursion, 0
	.set _ZL18rocblas_spr_kernelILi64ELi16ELi2E24rocblas_internal_val_ptrIdEPKdPdEvbbiT2_T3_lllT4_lli.has_indirect_call, 0
	.section	.AMDGPU.csdata,"",@progbits
; Kernel info:
; codeLenInByte = 808
; TotalNumSgprs: 32
; NumVgprs: 16
; ScratchSize: 0
; MemoryBound: 0
; FloatMode: 240
; IeeeMode: 1
; LDSByteSize: 0 bytes/workgroup (compile time only)
; SGPRBlocks: 3
; VGPRBlocks: 3
; NumSGPRsForWavesPerEU: 32
; NumVGPRsForWavesPerEU: 16
; Occupancy: 10
; WaveLimiterHint : 0
; COMPUTE_PGM_RSRC2:SCRATCH_EN: 0
; COMPUTE_PGM_RSRC2:USER_SGPR: 6
; COMPUTE_PGM_RSRC2:TRAP_HANDLER: 0
; COMPUTE_PGM_RSRC2:TGID_X_EN: 1
; COMPUTE_PGM_RSRC2:TGID_Y_EN: 1
; COMPUTE_PGM_RSRC2:TGID_Z_EN: 1
; COMPUTE_PGM_RSRC2:TIDIG_COMP_CNT: 1
	.section	.text._ZL18rocblas_spr_kernelILi64ELi16ELi2E24rocblas_internal_val_ptrI19rocblas_complex_numIfEEPKS2_PS2_EvbbiT2_T3_lllT4_lli,"axG",@progbits,_ZL18rocblas_spr_kernelILi64ELi16ELi2E24rocblas_internal_val_ptrI19rocblas_complex_numIfEEPKS2_PS2_EvbbiT2_T3_lllT4_lli,comdat
	.globl	_ZL18rocblas_spr_kernelILi64ELi16ELi2E24rocblas_internal_val_ptrI19rocblas_complex_numIfEEPKS2_PS2_EvbbiT2_T3_lllT4_lli ; -- Begin function _ZL18rocblas_spr_kernelILi64ELi16ELi2E24rocblas_internal_val_ptrI19rocblas_complex_numIfEEPKS2_PS2_EvbbiT2_T3_lllT4_lli
	.p2align	8
	.type	_ZL18rocblas_spr_kernelILi64ELi16ELi2E24rocblas_internal_val_ptrI19rocblas_complex_numIfEEPKS2_PS2_EvbbiT2_T3_lllT4_lli,@function
_ZL18rocblas_spr_kernelILi64ELi16ELi2E24rocblas_internal_val_ptrI19rocblas_complex_numIfEEPKS2_PS2_EvbbiT2_T3_lllT4_lli: ; @_ZL18rocblas_spr_kernelILi64ELi16ELi2E24rocblas_internal_val_ptrI19rocblas_complex_numIfEEPKS2_PS2_EvbbiT2_T3_lllT4_lli
; %bb.0:
	s_load_dword s0, s[4:5], 0x0
	s_load_dwordx16 s[12:27], s[4:5], 0x8
	s_waitcnt lgkmcnt(0)
	s_bitcmp0_b32 s0, 0
	s_cbranch_scc0 .LBB2_2
; %bb.1:
	s_load_dwordx2 s[10:11], s[12:13], 0x0
	s_cbranch_execz .LBB2_3
	s_branch .LBB2_4
.LBB2_2:
                                        ; implicit-def: $sgpr10
.LBB2_3:
	s_waitcnt lgkmcnt(0)
	s_mov_b32 s11, s13
	s_mov_b32 s10, s12
.LBB2_4:
	s_waitcnt lgkmcnt(0)
	v_cmp_neq_f32_e64 s[0:1], s10, 0
	v_cmp_neq_f32_e64 s[2:3], s11, 0
	s_or_b64 s[0:1], s[0:1], s[2:3]
	s_andn2_b64 vcc, exec, s[0:1]
	s_cbranch_vccnz .LBB2_21
; %bb.5:
	s_load_dwordx2 s[4:5], s[4:5], 0x0
	s_mov_b64 s[0:1], -1
	v_lshl_add_u32 v5, s6, 7, v0
	v_lshl_add_u32 v2, s7, 4, v1
                                        ; implicit-def: $vgpr0
	s_waitcnt lgkmcnt(0)
	s_bitcmp1_b32 s4, 8
	s_cselect_b64 s[2:3], -1, 0
	s_xor_b64 s[12:13], s[2:3], -1
	s_and_b64 vcc, exec, s[12:13]
	s_cbranch_vccz .LBB2_7
; %bb.6:
	s_lshl_b32 s0, s5, 1
	v_sub_u32_e32 v0, s0, v2
	v_mad_u64_u32 v[0:1], s[0:1], v2, v0, v[2:3]
	v_sub_u32_e32 v1, v5, v2
	s_mov_b64 s[0:1], 0
	v_lshrrev_b32_e32 v3, 31, v0
	v_add_u32_e32 v0, v0, v3
	v_ashrrev_i32_e32 v0, 1, v0
	v_add_u32_e32 v0, v1, v0
.LBB2_7:
	s_andn2_b64 vcc, exec, s[0:1]
	s_cbranch_vccnz .LBB2_9
; %bb.8:
	v_mad_u64_u32 v[0:1], s[0:1], v2, v2, v[2:3]
	v_lshrrev_b32_e32 v1, 31, v0
	v_add_u32_e32 v0, v0, v1
	v_ashrrev_i32_e32 v0, 1, v0
	v_add_u32_e32 v0, v0, v5
.LBB2_9:
	s_mul_i32 s0, s27, s8
	s_mul_hi_u32 s1, s26, s8
	s_add_i32 s1, s1, s0
	s_mul_i32 s0, s26, s8
	s_lshl_b64 s[0:1], s[0:1], 3
	s_add_u32 s2, s22, s0
	s_addc_u32 s3, s23, s1
	s_lshl_b64 s[0:1], s[24:25], 3
	s_add_u32 s9, s2, s0
	s_addc_u32 s22, s3, s1
	s_mul_i32 s0, s21, s8
	s_mul_hi_u32 s1, s20, s8
	v_ashrrev_i32_e32 v1, 31, v2
	s_add_i32 s1, s1, s0
	s_mul_i32 s0, s20, s8
	v_mul_lo_u32 v6, s19, v2
	v_mul_lo_u32 v1, s18, v1
	v_mad_u64_u32 v[3:4], s[2:3], s18, v2, 0
	s_lshl_b64 s[0:1], s[0:1], 3
	s_add_u32 s4, s14, s0
	s_addc_u32 s6, s15, s1
	s_lshl_b64 s[0:1], s[16:17], 3
	s_add_u32 s8, s4, s0
	v_add3_u32 v4, v4, v1, v6
	s_addc_u32 s14, s6, s1
	v_lshlrev_b64 v[3:4], 3, v[3:4]
	v_cmp_le_i32_e64 s[0:1], s5, v2
	v_mov_b32_e32 v1, s14
	s_and_b64 vcc, exec, s[12:13]
	s_cbranch_vccz .LBB2_11
; %bb.10:
	v_cmp_gt_i32_e32 vcc, s5, v5
	v_cmp_ge_i32_e64 s[2:3], v5, v2
	s_and_b64 s[6:7], s[2:3], vcc
	s_and_b64 s[6:7], s[6:7], exec
	v_add_co_u32_e64 v3, s[2:3], s8, v3
	v_addc_co_u32_e64 v4, s[2:3], v1, v4, s[2:3]
	s_cbranch_execz .LBB2_12
	s_branch .LBB2_13
.LBB2_11:
	s_mov_b64 s[6:7], 0
	v_add_co_u32_e64 v3, s[2:3], s8, v3
	v_addc_co_u32_e64 v4, s[2:3], v1, v4, s[2:3]
.LBB2_12:
	v_cmp_le_i32_e32 vcc, v5, v2
	s_xor_b64 s[2:3], s[0:1], -1
	s_and_b64 s[2:3], vcc, s[2:3]
	s_andn2_b64 s[6:7], s[6:7], exec
	s_and_b64 s[2:3], s[2:3], exec
	s_or_b64 s[6:7], s[6:7], s[2:3]
.LBB2_13:
	v_ashrrev_i32_e32 v1, 31, v0
	s_and_saveexec_b64 s[2:3], s[6:7]
	s_cbranch_execnz .LBB2_16
; %bb.14:
	s_or_b64 exec, exec, s[2:3]
	s_andn2_b64 vcc, exec, s[12:13]
	v_add_u32_e32 v5, 64, v5
	s_cbranch_vccnz .LBB2_17
.LBB2_15:
	v_cmp_gt_i32_e32 vcc, s5, v5
	v_cmp_le_i32_e64 s[2:3], v2, v5
	s_and_b64 s[2:3], s[2:3], vcc
	s_and_b64 s[2:3], s[2:3], exec
	s_cbranch_execz .LBB2_18
	s_branch .LBB2_19
.LBB2_16:
	v_ashrrev_i32_e32 v8, 31, v5
	v_mul_lo_u32 v9, s19, v5
	v_mad_u64_u32 v[6:7], s[6:7], s18, v5, 0
	v_mul_lo_u32 v8, s18, v8
	v_mov_b32_e32 v12, s22
	v_add3_u32 v7, v7, v8, v9
	v_lshlrev_b64 v[6:7], 3, v[6:7]
	v_mov_b32_e32 v8, s14
	v_add_co_u32_e32 v6, vcc, s8, v6
	v_addc_co_u32_e32 v7, vcc, v8, v7, vcc
	global_load_dwordx2 v[8:9], v[6:7], off
	global_load_dwordx2 v[10:11], v[3:4], off
	v_lshlrev_b64 v[6:7], 3, v[0:1]
	v_add_co_u32_e32 v6, vcc, s9, v6
	v_addc_co_u32_e32 v7, vcc, v12, v7, vcc
	global_load_dwordx2 v[12:13], v[6:7], off
	s_waitcnt vmcnt(2)
	v_mul_f32_e32 v14, s11, v9
	v_mul_f32_e32 v9, s10, v9
	v_fmac_f32_e32 v9, s11, v8
	v_fma_f32 v14, s10, v8, -v14
	s_waitcnt vmcnt(1)
	v_mul_f32_e32 v8, v11, v9
	v_mul_f32_e32 v9, v10, v9
	v_fma_f32 v8, v10, v14, -v8
	v_fmac_f32_e32 v9, v11, v14
	s_waitcnt vmcnt(0)
	v_add_f32_e32 v8, v12, v8
	v_add_f32_e32 v9, v9, v13
	global_store_dwordx2 v[6:7], v[8:9], off
	s_or_b64 exec, exec, s[2:3]
	s_andn2_b64 vcc, exec, s[12:13]
	v_add_u32_e32 v5, 64, v5
	s_cbranch_vccz .LBB2_15
.LBB2_17:
	s_mov_b64 s[2:3], 0
.LBB2_18:
	v_cmp_le_i32_e32 vcc, v5, v2
	s_xor_b64 s[0:1], s[0:1], -1
	s_and_b64 s[0:1], s[0:1], vcc
	s_andn2_b64 s[2:3], s[2:3], exec
	s_and_b64 s[0:1], s[0:1], exec
	s_or_b64 s[2:3], s[2:3], s[0:1]
.LBB2_19:
	s_and_saveexec_b64 s[0:1], s[2:3]
	s_cbranch_execz .LBB2_21
; %bb.20:
	v_ashrrev_i32_e32 v2, 31, v5
	v_mul_lo_u32 v7, s19, v5
	v_mad_u64_u32 v[5:6], s[0:1], s18, v5, 0
	v_mul_lo_u32 v2, s18, v2
	v_lshlrev_b64 v[0:1], 3, v[0:1]
	v_add3_u32 v6, v6, v2, v7
	v_lshlrev_b64 v[5:6], 3, v[5:6]
	v_mov_b32_e32 v2, s14
	v_add_co_u32_e32 v5, vcc, s8, v5
	v_addc_co_u32_e32 v6, vcc, v2, v6, vcc
	global_load_dwordx2 v[7:8], v[5:6], off
	global_load_dwordx2 v[9:10], v[3:4], off
	v_mov_b32_e32 v2, s22
	v_add_co_u32_e32 v0, vcc, s9, v0
	v_addc_co_u32_e32 v1, vcc, v2, v1, vcc
	global_load_dwordx2 v[2:3], v[0:1], off offset:512
	s_waitcnt vmcnt(2)
	v_mul_f32_e32 v5, s10, v8
	v_mul_f32_e32 v4, s11, v8
	v_fmac_f32_e32 v5, s11, v7
	v_fma_f32 v4, s10, v7, -v4
	s_waitcnt vmcnt(1)
	v_mul_f32_e32 v6, v10, v5
	v_mul_f32_e32 v5, v9, v5
	v_fma_f32 v6, v9, v4, -v6
	v_fmac_f32_e32 v5, v10, v4
	s_waitcnt vmcnt(0)
	v_add_f32_e32 v2, v2, v6
	v_add_f32_e32 v3, v5, v3
	global_store_dwordx2 v[0:1], v[2:3], off offset:512
.LBB2_21:
	s_endpgm
	.section	.rodata,"a",@progbits
	.p2align	6, 0x0
	.amdhsa_kernel _ZL18rocblas_spr_kernelILi64ELi16ELi2E24rocblas_internal_val_ptrI19rocblas_complex_numIfEEPKS2_PS2_EvbbiT2_T3_lllT4_lli
		.amdhsa_group_segment_fixed_size 0
		.amdhsa_private_segment_fixed_size 0
		.amdhsa_kernarg_size 76
		.amdhsa_user_sgpr_count 6
		.amdhsa_user_sgpr_private_segment_buffer 1
		.amdhsa_user_sgpr_dispatch_ptr 0
		.amdhsa_user_sgpr_queue_ptr 0
		.amdhsa_user_sgpr_kernarg_segment_ptr 1
		.amdhsa_user_sgpr_dispatch_id 0
		.amdhsa_user_sgpr_flat_scratch_init 0
		.amdhsa_user_sgpr_private_segment_size 0
		.amdhsa_uses_dynamic_stack 0
		.amdhsa_system_sgpr_private_segment_wavefront_offset 0
		.amdhsa_system_sgpr_workgroup_id_x 1
		.amdhsa_system_sgpr_workgroup_id_y 1
		.amdhsa_system_sgpr_workgroup_id_z 1
		.amdhsa_system_sgpr_workgroup_info 0
		.amdhsa_system_vgpr_workitem_id 1
		.amdhsa_next_free_vgpr 15
		.amdhsa_next_free_sgpr 28
		.amdhsa_reserve_vcc 1
		.amdhsa_reserve_flat_scratch 0
		.amdhsa_float_round_mode_32 0
		.amdhsa_float_round_mode_16_64 0
		.amdhsa_float_denorm_mode_32 3
		.amdhsa_float_denorm_mode_16_64 3
		.amdhsa_dx10_clamp 1
		.amdhsa_ieee_mode 1
		.amdhsa_fp16_overflow 0
		.amdhsa_exception_fp_ieee_invalid_op 0
		.amdhsa_exception_fp_denorm_src 0
		.amdhsa_exception_fp_ieee_div_zero 0
		.amdhsa_exception_fp_ieee_overflow 0
		.amdhsa_exception_fp_ieee_underflow 0
		.amdhsa_exception_fp_ieee_inexact 0
		.amdhsa_exception_int_div_zero 0
	.end_amdhsa_kernel
	.section	.text._ZL18rocblas_spr_kernelILi64ELi16ELi2E24rocblas_internal_val_ptrI19rocblas_complex_numIfEEPKS2_PS2_EvbbiT2_T3_lllT4_lli,"axG",@progbits,_ZL18rocblas_spr_kernelILi64ELi16ELi2E24rocblas_internal_val_ptrI19rocblas_complex_numIfEEPKS2_PS2_EvbbiT2_T3_lllT4_lli,comdat
.Lfunc_end2:
	.size	_ZL18rocblas_spr_kernelILi64ELi16ELi2E24rocblas_internal_val_ptrI19rocblas_complex_numIfEEPKS2_PS2_EvbbiT2_T3_lllT4_lli, .Lfunc_end2-_ZL18rocblas_spr_kernelILi64ELi16ELi2E24rocblas_internal_val_ptrI19rocblas_complex_numIfEEPKS2_PS2_EvbbiT2_T3_lllT4_lli
                                        ; -- End function
	.set _ZL18rocblas_spr_kernelILi64ELi16ELi2E24rocblas_internal_val_ptrI19rocblas_complex_numIfEEPKS2_PS2_EvbbiT2_T3_lllT4_lli.num_vgpr, 15
	.set _ZL18rocblas_spr_kernelILi64ELi16ELi2E24rocblas_internal_val_ptrI19rocblas_complex_numIfEEPKS2_PS2_EvbbiT2_T3_lllT4_lli.num_agpr, 0
	.set _ZL18rocblas_spr_kernelILi64ELi16ELi2E24rocblas_internal_val_ptrI19rocblas_complex_numIfEEPKS2_PS2_EvbbiT2_T3_lllT4_lli.numbered_sgpr, 28
	.set _ZL18rocblas_spr_kernelILi64ELi16ELi2E24rocblas_internal_val_ptrI19rocblas_complex_numIfEEPKS2_PS2_EvbbiT2_T3_lllT4_lli.num_named_barrier, 0
	.set _ZL18rocblas_spr_kernelILi64ELi16ELi2E24rocblas_internal_val_ptrI19rocblas_complex_numIfEEPKS2_PS2_EvbbiT2_T3_lllT4_lli.private_seg_size, 0
	.set _ZL18rocblas_spr_kernelILi64ELi16ELi2E24rocblas_internal_val_ptrI19rocblas_complex_numIfEEPKS2_PS2_EvbbiT2_T3_lllT4_lli.uses_vcc, 1
	.set _ZL18rocblas_spr_kernelILi64ELi16ELi2E24rocblas_internal_val_ptrI19rocblas_complex_numIfEEPKS2_PS2_EvbbiT2_T3_lllT4_lli.uses_flat_scratch, 0
	.set _ZL18rocblas_spr_kernelILi64ELi16ELi2E24rocblas_internal_val_ptrI19rocblas_complex_numIfEEPKS2_PS2_EvbbiT2_T3_lllT4_lli.has_dyn_sized_stack, 0
	.set _ZL18rocblas_spr_kernelILi64ELi16ELi2E24rocblas_internal_val_ptrI19rocblas_complex_numIfEEPKS2_PS2_EvbbiT2_T3_lllT4_lli.has_recursion, 0
	.set _ZL18rocblas_spr_kernelILi64ELi16ELi2E24rocblas_internal_val_ptrI19rocblas_complex_numIfEEPKS2_PS2_EvbbiT2_T3_lllT4_lli.has_indirect_call, 0
	.section	.AMDGPU.csdata,"",@progbits
; Kernel info:
; codeLenInByte = 892
; TotalNumSgprs: 32
; NumVgprs: 15
; ScratchSize: 0
; MemoryBound: 0
; FloatMode: 240
; IeeeMode: 1
; LDSByteSize: 0 bytes/workgroup (compile time only)
; SGPRBlocks: 3
; VGPRBlocks: 3
; NumSGPRsForWavesPerEU: 32
; NumVGPRsForWavesPerEU: 15
; Occupancy: 10
; WaveLimiterHint : 0
; COMPUTE_PGM_RSRC2:SCRATCH_EN: 0
; COMPUTE_PGM_RSRC2:USER_SGPR: 6
; COMPUTE_PGM_RSRC2:TRAP_HANDLER: 0
; COMPUTE_PGM_RSRC2:TGID_X_EN: 1
; COMPUTE_PGM_RSRC2:TGID_Y_EN: 1
; COMPUTE_PGM_RSRC2:TGID_Z_EN: 1
; COMPUTE_PGM_RSRC2:TIDIG_COMP_CNT: 1
	.section	.text._ZL18rocblas_spr_kernelILi64ELi16ELi1E24rocblas_internal_val_ptrI19rocblas_complex_numIdEEPKS2_PS2_EvbbiT2_T3_lllT4_lli,"axG",@progbits,_ZL18rocblas_spr_kernelILi64ELi16ELi1E24rocblas_internal_val_ptrI19rocblas_complex_numIdEEPKS2_PS2_EvbbiT2_T3_lllT4_lli,comdat
	.globl	_ZL18rocblas_spr_kernelILi64ELi16ELi1E24rocblas_internal_val_ptrI19rocblas_complex_numIdEEPKS2_PS2_EvbbiT2_T3_lllT4_lli ; -- Begin function _ZL18rocblas_spr_kernelILi64ELi16ELi1E24rocblas_internal_val_ptrI19rocblas_complex_numIdEEPKS2_PS2_EvbbiT2_T3_lllT4_lli
	.p2align	8
	.type	_ZL18rocblas_spr_kernelILi64ELi16ELi1E24rocblas_internal_val_ptrI19rocblas_complex_numIdEEPKS2_PS2_EvbbiT2_T3_lllT4_lli,@function
_ZL18rocblas_spr_kernelILi64ELi16ELi1E24rocblas_internal_val_ptrI19rocblas_complex_numIdEEPKS2_PS2_EvbbiT2_T3_lllT4_lli: ; @_ZL18rocblas_spr_kernelILi64ELi16ELi1E24rocblas_internal_val_ptrI19rocblas_complex_numIdEEPKS2_PS2_EvbbiT2_T3_lllT4_lli
; %bb.0:
	s_load_dword s2, s[4:5], 0x0
	s_load_dwordx2 s[0:1], s[4:5], 0x8
	s_waitcnt lgkmcnt(0)
	s_bitcmp0_b32 s2, 0
	s_cbranch_scc0 .LBB3_2
; %bb.1:
	s_load_dwordx4 s[20:23], s[0:1], 0x0
	s_cbranch_execz .LBB3_3
	s_branch .LBB3_4
.LBB3_2:
                                        ; implicit-def: $sgpr22_sgpr23
.LBB3_3:
	s_waitcnt lgkmcnt(0)
	s_load_dwordx2 s[22:23], s[4:5], 0x10
	s_mov_b64 s[20:21], s[0:1]
.LBB3_4:
	s_waitcnt lgkmcnt(0)
	v_cmp_neq_f64_e64 s[0:1], s[20:21], 0
	v_cmp_neq_f64_e64 s[2:3], s[22:23], 0
	s_or_b64 s[0:1], s[0:1], s[2:3]
	s_andn2_b64 vcc, exec, s[0:1]
	s_cbranch_vccnz .LBB3_15
; %bb.5:
	s_load_dwordx2 s[2:3], s[4:5], 0x0
	s_mov_b64 s[10:11], -1
	v_lshl_add_u32 v2, s6, 6, v0
	v_lshl_add_u32 v1, s7, 4, v1
                                        ; implicit-def: $vgpr0
	s_waitcnt lgkmcnt(0)
	s_bitcmp1_b32 s2, 8
	s_cselect_b64 s[0:1], -1, 0
	s_xor_b64 s[0:1], s[0:1], -1
	s_and_b64 vcc, exec, s[0:1]
	s_cbranch_vccnz .LBB3_9
; %bb.6:
	s_andn2_b64 vcc, exec, s[10:11]
	s_cbranch_vccz .LBB3_10
.LBB3_7:
	s_and_b64 vcc, exec, s[0:1]
	s_cbranch_vccz .LBB3_11
.LBB3_8:
	v_cmp_gt_i32_e32 vcc, s3, v2
	v_cmp_ge_i32_e64 s[0:1], v2, v1
	s_and_b64 s[6:7], s[0:1], vcc
	s_and_b64 s[6:7], s[6:7], exec
	s_cbranch_execz .LBB3_12
	s_branch .LBB3_13
.LBB3_9:
	s_lshl_b32 s2, s3, 1
	v_sub_u32_e32 v0, s2, v1
	v_mad_u64_u32 v[3:4], s[6:7], v1, v0, v[1:2]
	v_sub_u32_e32 v0, v2, v1
	v_lshrrev_b32_e32 v4, 31, v3
	v_add_u32_e32 v3, v3, v4
	v_ashrrev_i32_e32 v3, 1, v3
	v_add_u32_e32 v0, v0, v3
	s_cbranch_execnz .LBB3_7
.LBB3_10:
	v_mad_u64_u32 v[3:4], s[6:7], v1, v1, v[1:2]
	v_lshrrev_b32_e32 v0, 31, v3
	v_add_u32_e32 v0, v3, v0
	v_ashrrev_i32_e32 v0, 1, v0
	v_add_u32_e32 v0, v0, v2
	s_and_b64 vcc, exec, s[0:1]
	s_cbranch_vccnz .LBB3_8
.LBB3_11:
	s_mov_b64 s[6:7], 0
.LBB3_12:
	v_cmp_gt_i32_e32 vcc, s3, v1
	v_cmp_le_i32_e64 s[0:1], v2, v1
	s_and_b64 s[0:1], s[0:1], vcc
	s_andn2_b64 s[2:3], s[6:7], exec
	s_and_b64 s[0:1], s[0:1], exec
	s_or_b64 s[6:7], s[2:3], s[0:1]
.LBB3_13:
	s_and_saveexec_b64 s[0:1], s[6:7]
	s_cbranch_execz .LBB3_15
; %bb.14:
	s_load_dwordx8 s[12:19], s[4:5], 0x18
	v_ashrrev_i32_e32 v3, 31, v2
	v_ashrrev_i32_e32 v6, 31, v1
	s_waitcnt lgkmcnt(0)
	s_mul_i32 s1, s19, s8
	s_mul_hi_u32 s2, s18, s8
	s_mul_i32 s0, s18, s8
	s_add_i32 s1, s2, s1
	s_lshl_b64 s[0:1], s[0:1], 4
	s_add_u32 s2, s12, s0
	s_addc_u32 s6, s13, s1
	s_lshl_b64 s[0:1], s[14:15], 4
	s_add_u32 s9, s2, s0
	v_mul_lo_u32 v4, s17, v2
	v_mul_lo_u32 v5, s16, v3
	v_mad_u64_u32 v[2:3], s[2:3], s16, v2, 0
	s_addc_u32 s10, s6, s1
	v_mul_lo_u32 v8, s17, v1
	v_add3_u32 v3, v3, v5, v4
	v_lshlrev_b64 v[2:3], 4, v[2:3]
	v_mov_b32_e32 v4, s10
	v_add_co_u32_e32 v2, vcc, s9, v2
	v_addc_co_u32_e32 v3, vcc, v4, v3, vcc
	global_load_dwordx4 v[2:5], v[2:3], off
	v_mul_lo_u32 v9, s16, v6
	v_mad_u64_u32 v[6:7], s[0:1], s16, v1, 0
	v_mov_b32_e32 v1, s10
	s_load_dwordx4 s[0:3], s[4:5], 0x38
	s_load_dwordx2 s[6:7], s[4:5], 0x48
	v_add3_u32 v7, v7, v9, v8
	v_lshlrev_b64 v[6:7], 4, v[6:7]
	v_add_co_u32_e32 v6, vcc, s9, v6
	v_addc_co_u32_e32 v7, vcc, v1, v7, vcc
	global_load_dwordx4 v[6:9], v[6:7], off
	s_waitcnt lgkmcnt(0)
	s_mul_i32 s4, s7, s8
	s_mul_hi_u32 s5, s6, s8
	s_add_i32 s5, s5, s4
	s_mul_i32 s4, s6, s8
	s_lshl_b64 s[4:5], s[4:5], 4
	s_add_u32 s4, s0, s4
	s_addc_u32 s5, s1, s5
	s_lshl_b64 s[0:1], s[2:3], 4
	v_ashrrev_i32_e32 v1, 31, v0
	s_add_u32 s0, s4, s0
	v_lshlrev_b64 v[0:1], 4, v[0:1]
	s_addc_u32 s1, s5, s1
	v_mov_b32_e32 v10, s1
	v_add_co_u32_e32 v14, vcc, s0, v0
	v_addc_co_u32_e32 v15, vcc, v10, v1, vcc
	global_load_dwordx4 v[10:13], v[14:15], off
	s_waitcnt vmcnt(2)
	v_mul_f64 v[0:1], s[20:21], v[4:5]
	v_mul_f64 v[4:5], s[22:23], v[4:5]
	v_fma_f64 v[0:1], s[22:23], v[2:3], v[0:1]
	v_fma_f64 v[2:3], s[20:21], v[2:3], -v[4:5]
	s_waitcnt vmcnt(1)
	v_mul_f64 v[4:5], v[8:9], v[0:1]
	v_mul_f64 v[0:1], v[6:7], v[0:1]
	v_fma_f64 v[4:5], v[6:7], v[2:3], -v[4:5]
	v_fma_f64 v[2:3], v[8:9], v[2:3], v[0:1]
	s_waitcnt vmcnt(0)
	v_add_f64 v[0:1], v[10:11], v[4:5]
	v_add_f64 v[2:3], v[2:3], v[12:13]
	global_store_dwordx4 v[14:15], v[0:3], off
.LBB3_15:
	s_endpgm
	.section	.rodata,"a",@progbits
	.p2align	6, 0x0
	.amdhsa_kernel _ZL18rocblas_spr_kernelILi64ELi16ELi1E24rocblas_internal_val_ptrI19rocblas_complex_numIdEEPKS2_PS2_EvbbiT2_T3_lllT4_lli
		.amdhsa_group_segment_fixed_size 0
		.amdhsa_private_segment_fixed_size 0
		.amdhsa_kernarg_size 84
		.amdhsa_user_sgpr_count 6
		.amdhsa_user_sgpr_private_segment_buffer 1
		.amdhsa_user_sgpr_dispatch_ptr 0
		.amdhsa_user_sgpr_queue_ptr 0
		.amdhsa_user_sgpr_kernarg_segment_ptr 1
		.amdhsa_user_sgpr_dispatch_id 0
		.amdhsa_user_sgpr_flat_scratch_init 0
		.amdhsa_user_sgpr_private_segment_size 0
		.amdhsa_uses_dynamic_stack 0
		.amdhsa_system_sgpr_private_segment_wavefront_offset 0
		.amdhsa_system_sgpr_workgroup_id_x 1
		.amdhsa_system_sgpr_workgroup_id_y 1
		.amdhsa_system_sgpr_workgroup_id_z 1
		.amdhsa_system_sgpr_workgroup_info 0
		.amdhsa_system_vgpr_workitem_id 1
		.amdhsa_next_free_vgpr 16
		.amdhsa_next_free_sgpr 24
		.amdhsa_reserve_vcc 1
		.amdhsa_reserve_flat_scratch 0
		.amdhsa_float_round_mode_32 0
		.amdhsa_float_round_mode_16_64 0
		.amdhsa_float_denorm_mode_32 3
		.amdhsa_float_denorm_mode_16_64 3
		.amdhsa_dx10_clamp 1
		.amdhsa_ieee_mode 1
		.amdhsa_fp16_overflow 0
		.amdhsa_exception_fp_ieee_invalid_op 0
		.amdhsa_exception_fp_denorm_src 0
		.amdhsa_exception_fp_ieee_div_zero 0
		.amdhsa_exception_fp_ieee_overflow 0
		.amdhsa_exception_fp_ieee_underflow 0
		.amdhsa_exception_fp_ieee_inexact 0
		.amdhsa_exception_int_div_zero 0
	.end_amdhsa_kernel
	.section	.text._ZL18rocblas_spr_kernelILi64ELi16ELi1E24rocblas_internal_val_ptrI19rocblas_complex_numIdEEPKS2_PS2_EvbbiT2_T3_lllT4_lli,"axG",@progbits,_ZL18rocblas_spr_kernelILi64ELi16ELi1E24rocblas_internal_val_ptrI19rocblas_complex_numIdEEPKS2_PS2_EvbbiT2_T3_lllT4_lli,comdat
.Lfunc_end3:
	.size	_ZL18rocblas_spr_kernelILi64ELi16ELi1E24rocblas_internal_val_ptrI19rocblas_complex_numIdEEPKS2_PS2_EvbbiT2_T3_lllT4_lli, .Lfunc_end3-_ZL18rocblas_spr_kernelILi64ELi16ELi1E24rocblas_internal_val_ptrI19rocblas_complex_numIdEEPKS2_PS2_EvbbiT2_T3_lllT4_lli
                                        ; -- End function
	.set _ZL18rocblas_spr_kernelILi64ELi16ELi1E24rocblas_internal_val_ptrI19rocblas_complex_numIdEEPKS2_PS2_EvbbiT2_T3_lllT4_lli.num_vgpr, 16
	.set _ZL18rocblas_spr_kernelILi64ELi16ELi1E24rocblas_internal_val_ptrI19rocblas_complex_numIdEEPKS2_PS2_EvbbiT2_T3_lllT4_lli.num_agpr, 0
	.set _ZL18rocblas_spr_kernelILi64ELi16ELi1E24rocblas_internal_val_ptrI19rocblas_complex_numIdEEPKS2_PS2_EvbbiT2_T3_lllT4_lli.numbered_sgpr, 24
	.set _ZL18rocblas_spr_kernelILi64ELi16ELi1E24rocblas_internal_val_ptrI19rocblas_complex_numIdEEPKS2_PS2_EvbbiT2_T3_lllT4_lli.num_named_barrier, 0
	.set _ZL18rocblas_spr_kernelILi64ELi16ELi1E24rocblas_internal_val_ptrI19rocblas_complex_numIdEEPKS2_PS2_EvbbiT2_T3_lllT4_lli.private_seg_size, 0
	.set _ZL18rocblas_spr_kernelILi64ELi16ELi1E24rocblas_internal_val_ptrI19rocblas_complex_numIdEEPKS2_PS2_EvbbiT2_T3_lllT4_lli.uses_vcc, 1
	.set _ZL18rocblas_spr_kernelILi64ELi16ELi1E24rocblas_internal_val_ptrI19rocblas_complex_numIdEEPKS2_PS2_EvbbiT2_T3_lllT4_lli.uses_flat_scratch, 0
	.set _ZL18rocblas_spr_kernelILi64ELi16ELi1E24rocblas_internal_val_ptrI19rocblas_complex_numIdEEPKS2_PS2_EvbbiT2_T3_lllT4_lli.has_dyn_sized_stack, 0
	.set _ZL18rocblas_spr_kernelILi64ELi16ELi1E24rocblas_internal_val_ptrI19rocblas_complex_numIdEEPKS2_PS2_EvbbiT2_T3_lllT4_lli.has_recursion, 0
	.set _ZL18rocblas_spr_kernelILi64ELi16ELi1E24rocblas_internal_val_ptrI19rocblas_complex_numIdEEPKS2_PS2_EvbbiT2_T3_lllT4_lli.has_indirect_call, 0
	.section	.AMDGPU.csdata,"",@progbits
; Kernel info:
; codeLenInByte = 676
; TotalNumSgprs: 28
; NumVgprs: 16
; ScratchSize: 0
; MemoryBound: 0
; FloatMode: 240
; IeeeMode: 1
; LDSByteSize: 0 bytes/workgroup (compile time only)
; SGPRBlocks: 3
; VGPRBlocks: 3
; NumSGPRsForWavesPerEU: 28
; NumVGPRsForWavesPerEU: 16
; Occupancy: 10
; WaveLimiterHint : 0
; COMPUTE_PGM_RSRC2:SCRATCH_EN: 0
; COMPUTE_PGM_RSRC2:USER_SGPR: 6
; COMPUTE_PGM_RSRC2:TRAP_HANDLER: 0
; COMPUTE_PGM_RSRC2:TGID_X_EN: 1
; COMPUTE_PGM_RSRC2:TGID_Y_EN: 1
; COMPUTE_PGM_RSRC2:TGID_Z_EN: 1
; COMPUTE_PGM_RSRC2:TIDIG_COMP_CNT: 1
	.section	.text._ZL18rocblas_spr_kernelILi64ELi16ELi2E24rocblas_internal_val_ptrIfEPKPKfPKPfEvbbiT2_T3_lllT4_lli,"axG",@progbits,_ZL18rocblas_spr_kernelILi64ELi16ELi2E24rocblas_internal_val_ptrIfEPKPKfPKPfEvbbiT2_T3_lllT4_lli,comdat
	.globl	_ZL18rocblas_spr_kernelILi64ELi16ELi2E24rocblas_internal_val_ptrIfEPKPKfPKPfEvbbiT2_T3_lllT4_lli ; -- Begin function _ZL18rocblas_spr_kernelILi64ELi16ELi2E24rocblas_internal_val_ptrIfEPKPKfPKPfEvbbiT2_T3_lllT4_lli
	.p2align	8
	.type	_ZL18rocblas_spr_kernelILi64ELi16ELi2E24rocblas_internal_val_ptrIfEPKPKfPKPfEvbbiT2_T3_lllT4_lli,@function
_ZL18rocblas_spr_kernelILi64ELi16ELi2E24rocblas_internal_val_ptrIfEPKPKfPKPfEvbbiT2_T3_lllT4_lli: ; @_ZL18rocblas_spr_kernelILi64ELi16ELi2E24rocblas_internal_val_ptrIfEPKPKfPKPfEvbbiT2_T3_lllT4_lli
; %bb.0:
	s_load_dword s0, s[4:5], 0x0
	s_load_dwordx8 s[12:19], s[4:5], 0x8
	s_waitcnt lgkmcnt(0)
	s_bitcmp0_b32 s0, 0
	s_cbranch_scc0 .LBB4_2
; %bb.1:
	s_load_dword s20, s[12:13], 0x0
	s_cbranch_execz .LBB4_3
	s_branch .LBB4_4
.LBB4_2:
                                        ; implicit-def: $sgpr20
.LBB4_3:
	s_waitcnt lgkmcnt(0)
	s_mov_b32 s20, s12
.LBB4_4:
	s_waitcnt lgkmcnt(0)
	v_cmp_eq_f32_e64 s[0:1], s20, 0
	s_mov_b32 s9, 0
	s_and_b64 vcc, exec, s[0:1]
	s_cbranch_vccnz .LBB4_21
; %bb.5:
	s_load_dwordx2 s[10:11], s[4:5], 0x0
	s_load_dwordx4 s[0:3], s[4:5], 0x30
	s_mov_b64 s[12:13], -1
	v_lshl_add_u32 v5, s6, 7, v0
	v_lshl_add_u32 v2, s7, 4, v1
	s_waitcnt lgkmcnt(0)
	s_bitcmp1_b32 s10, 8
	s_cselect_b64 s[4:5], -1, 0
	s_lshl_b64 s[22:23], s[8:9], 3
	s_xor_b64 s[4:5], s[4:5], -1
	s_add_u32 s0, s0, s22
	s_addc_u32 s1, s1, s23
	s_load_dwordx2 s[8:9], s[0:1], 0x0
	s_add_u32 s0, s14, s22
	s_addc_u32 s1, s15, s23
	s_load_dwordx2 s[0:1], s[0:1], 0x0
	s_and_b64 vcc, exec, s[4:5]
                                        ; implicit-def: $vgpr0
	s_cbranch_vccz .LBB4_7
; %bb.6:
	s_lshl_b32 s6, s11, 1
	v_sub_u32_e32 v0, s6, v2
	v_mad_u64_u32 v[0:1], s[6:7], v2, v0, v[2:3]
	v_sub_u32_e32 v1, v5, v2
	s_mov_b64 s[12:13], 0
	v_lshrrev_b32_e32 v3, 31, v0
	v_add_u32_e32 v0, v0, v3
	v_ashrrev_i32_e32 v0, 1, v0
	v_add_u32_e32 v0, v1, v0
.LBB4_7:
	s_andn2_b64 vcc, exec, s[12:13]
	s_cbranch_vccnz .LBB4_9
; %bb.8:
	v_mad_u64_u32 v[0:1], s[6:7], v2, v2, v[2:3]
	v_lshrrev_b32_e32 v1, 31, v0
	v_add_u32_e32 v0, v0, v1
	v_ashrrev_i32_e32 v0, 1, v0
	v_add_u32_e32 v0, v0, v5
.LBB4_9:
	v_ashrrev_i32_e32 v1, 31, v2
	v_mul_lo_u32 v6, s19, v2
	v_mul_lo_u32 v1, s18, v1
	v_mad_u64_u32 v[3:4], s[6:7], s18, v2, 0
	s_lshl_b64 s[2:3], s[2:3], 2
	s_waitcnt lgkmcnt(0)
	s_add_u32 s8, s8, s2
	s_addc_u32 s9, s9, s3
	s_lshl_b64 s[2:3], s[16:17], 2
	s_add_u32 s10, s0, s2
	v_add3_u32 v4, v4, v1, v6
	s_addc_u32 s12, s1, s3
	v_lshlrev_b64 v[3:4], 2, v[3:4]
	v_cmp_le_i32_e64 s[0:1], s11, v2
	v_mov_b32_e32 v1, s12
	s_and_b64 vcc, exec, s[4:5]
	s_cbranch_vccz .LBB4_11
; %bb.10:
	v_cmp_gt_i32_e32 vcc, s11, v5
	v_cmp_ge_i32_e64 s[2:3], v5, v2
	s_and_b64 s[6:7], s[2:3], vcc
	s_and_b64 s[6:7], s[6:7], exec
	v_add_co_u32_e64 v3, s[2:3], s10, v3
	v_addc_co_u32_e64 v4, s[2:3], v1, v4, s[2:3]
	s_cbranch_execz .LBB4_12
	s_branch .LBB4_13
.LBB4_11:
	s_mov_b64 s[6:7], 0
	v_add_co_u32_e64 v3, s[2:3], s10, v3
	v_addc_co_u32_e64 v4, s[2:3], v1, v4, s[2:3]
.LBB4_12:
	v_cmp_le_i32_e32 vcc, v5, v2
	s_xor_b64 s[2:3], s[0:1], -1
	s_and_b64 s[2:3], vcc, s[2:3]
	s_andn2_b64 s[6:7], s[6:7], exec
	s_and_b64 s[2:3], s[2:3], exec
	s_or_b64 s[6:7], s[6:7], s[2:3]
.LBB4_13:
	v_ashrrev_i32_e32 v1, 31, v0
	s_and_saveexec_b64 s[2:3], s[6:7]
	s_cbranch_execnz .LBB4_16
; %bb.14:
	s_or_b64 exec, exec, s[2:3]
	s_andn2_b64 vcc, exec, s[4:5]
	v_add_u32_e32 v5, 64, v5
	s_cbranch_vccnz .LBB4_17
.LBB4_15:
	v_cmp_gt_i32_e32 vcc, s11, v5
	v_cmp_le_i32_e64 s[2:3], v2, v5
	s_and_b64 s[2:3], s[2:3], vcc
	s_and_b64 s[2:3], s[2:3], exec
	s_cbranch_execz .LBB4_18
	s_branch .LBB4_19
.LBB4_16:
	v_ashrrev_i32_e32 v8, 31, v5
	v_mul_lo_u32 v9, s19, v5
	v_mad_u64_u32 v[6:7], s[6:7], s18, v5, 0
	v_mul_lo_u32 v8, s18, v8
	v_mov_b32_e32 v10, s9
	v_add3_u32 v7, v7, v8, v9
	v_lshlrev_b64 v[6:7], 2, v[6:7]
	v_mov_b32_e32 v8, s12
	v_add_co_u32_e32 v6, vcc, s10, v6
	v_addc_co_u32_e32 v7, vcc, v8, v7, vcc
	flat_load_dword v8, v[6:7]
	flat_load_dword v9, v[3:4]
	v_lshlrev_b64 v[6:7], 2, v[0:1]
	v_add_co_u32_e32 v6, vcc, s8, v6
	v_addc_co_u32_e32 v7, vcc, v10, v7, vcc
	flat_load_dword v10, v[6:7]
	s_waitcnt vmcnt(0) lgkmcnt(0)
	v_mul_f32_e32 v8, s20, v8
	v_fmac_f32_e32 v10, v8, v9
	flat_store_dword v[6:7], v10
	s_or_b64 exec, exec, s[2:3]
	s_andn2_b64 vcc, exec, s[4:5]
	v_add_u32_e32 v5, 64, v5
	s_cbranch_vccz .LBB4_15
.LBB4_17:
	s_mov_b64 s[2:3], 0
.LBB4_18:
	v_cmp_le_i32_e32 vcc, v5, v2
	s_xor_b64 s[0:1], s[0:1], -1
	s_and_b64 s[0:1], s[0:1], vcc
	s_andn2_b64 s[2:3], s[2:3], exec
	s_and_b64 s[0:1], s[0:1], exec
	s_or_b64 s[2:3], s[2:3], s[0:1]
.LBB4_19:
	s_and_saveexec_b64 s[0:1], s[2:3]
	s_cbranch_execz .LBB4_21
; %bb.20:
	v_ashrrev_i32_e32 v2, 31, v5
	v_mul_lo_u32 v7, s19, v5
	v_mad_u64_u32 v[5:6], s[0:1], s18, v5, 0
	v_mul_lo_u32 v2, s18, v2
	v_lshlrev_b64 v[0:1], 2, v[0:1]
	v_add3_u32 v6, v6, v2, v7
	v_lshlrev_b64 v[5:6], 2, v[5:6]
	v_mov_b32_e32 v2, s12
	v_add_co_u32_e32 v5, vcc, s10, v5
	v_addc_co_u32_e32 v6, vcc, v2, v6, vcc
	flat_load_dword v2, v[5:6]
	flat_load_dword v7, v[3:4]
	v_mov_b32_e32 v3, s9
	v_add_co_u32_e32 v0, vcc, s8, v0
	v_addc_co_u32_e32 v1, vcc, v3, v1, vcc
	flat_load_dword v3, v[0:1] offset:256
	s_waitcnt vmcnt(0) lgkmcnt(0)
	v_mul_f32_e32 v2, s20, v2
	v_fmac_f32_e32 v3, v2, v7
	flat_store_dword v[0:1], v3 offset:256
.LBB4_21:
	s_endpgm
	.section	.rodata,"a",@progbits
	.p2align	6, 0x0
	.amdhsa_kernel _ZL18rocblas_spr_kernelILi64ELi16ELi2E24rocblas_internal_val_ptrIfEPKPKfPKPfEvbbiT2_T3_lllT4_lli
		.amdhsa_group_segment_fixed_size 0
		.amdhsa_private_segment_fixed_size 0
		.amdhsa_kernarg_size 76
		.amdhsa_user_sgpr_count 6
		.amdhsa_user_sgpr_private_segment_buffer 1
		.amdhsa_user_sgpr_dispatch_ptr 0
		.amdhsa_user_sgpr_queue_ptr 0
		.amdhsa_user_sgpr_kernarg_segment_ptr 1
		.amdhsa_user_sgpr_dispatch_id 0
		.amdhsa_user_sgpr_flat_scratch_init 0
		.amdhsa_user_sgpr_private_segment_size 0
		.amdhsa_uses_dynamic_stack 0
		.amdhsa_system_sgpr_private_segment_wavefront_offset 0
		.amdhsa_system_sgpr_workgroup_id_x 1
		.amdhsa_system_sgpr_workgroup_id_y 1
		.amdhsa_system_sgpr_workgroup_id_z 1
		.amdhsa_system_sgpr_workgroup_info 0
		.amdhsa_system_vgpr_workitem_id 1
		.amdhsa_next_free_vgpr 11
		.amdhsa_next_free_sgpr 24
		.amdhsa_reserve_vcc 1
		.amdhsa_reserve_flat_scratch 0
		.amdhsa_float_round_mode_32 0
		.amdhsa_float_round_mode_16_64 0
		.amdhsa_float_denorm_mode_32 3
		.amdhsa_float_denorm_mode_16_64 3
		.amdhsa_dx10_clamp 1
		.amdhsa_ieee_mode 1
		.amdhsa_fp16_overflow 0
		.amdhsa_exception_fp_ieee_invalid_op 0
		.amdhsa_exception_fp_denorm_src 0
		.amdhsa_exception_fp_ieee_div_zero 0
		.amdhsa_exception_fp_ieee_overflow 0
		.amdhsa_exception_fp_ieee_underflow 0
		.amdhsa_exception_fp_ieee_inexact 0
		.amdhsa_exception_int_div_zero 0
	.end_amdhsa_kernel
	.section	.text._ZL18rocblas_spr_kernelILi64ELi16ELi2E24rocblas_internal_val_ptrIfEPKPKfPKPfEvbbiT2_T3_lllT4_lli,"axG",@progbits,_ZL18rocblas_spr_kernelILi64ELi16ELi2E24rocblas_internal_val_ptrIfEPKPKfPKPfEvbbiT2_T3_lllT4_lli,comdat
.Lfunc_end4:
	.size	_ZL18rocblas_spr_kernelILi64ELi16ELi2E24rocblas_internal_val_ptrIfEPKPKfPKPfEvbbiT2_T3_lllT4_lli, .Lfunc_end4-_ZL18rocblas_spr_kernelILi64ELi16ELi2E24rocblas_internal_val_ptrIfEPKPKfPKPfEvbbiT2_T3_lllT4_lli
                                        ; -- End function
	.set _ZL18rocblas_spr_kernelILi64ELi16ELi2E24rocblas_internal_val_ptrIfEPKPKfPKPfEvbbiT2_T3_lllT4_lli.num_vgpr, 11
	.set _ZL18rocblas_spr_kernelILi64ELi16ELi2E24rocblas_internal_val_ptrIfEPKPKfPKPfEvbbiT2_T3_lllT4_lli.num_agpr, 0
	.set _ZL18rocblas_spr_kernelILi64ELi16ELi2E24rocblas_internal_val_ptrIfEPKPKfPKPfEvbbiT2_T3_lllT4_lli.numbered_sgpr, 24
	.set _ZL18rocblas_spr_kernelILi64ELi16ELi2E24rocblas_internal_val_ptrIfEPKPKfPKPfEvbbiT2_T3_lllT4_lli.num_named_barrier, 0
	.set _ZL18rocblas_spr_kernelILi64ELi16ELi2E24rocblas_internal_val_ptrIfEPKPKfPKPfEvbbiT2_T3_lllT4_lli.private_seg_size, 0
	.set _ZL18rocblas_spr_kernelILi64ELi16ELi2E24rocblas_internal_val_ptrIfEPKPKfPKPfEvbbiT2_T3_lllT4_lli.uses_vcc, 1
	.set _ZL18rocblas_spr_kernelILi64ELi16ELi2E24rocblas_internal_val_ptrIfEPKPKfPKPfEvbbiT2_T3_lllT4_lli.uses_flat_scratch, 0
	.set _ZL18rocblas_spr_kernelILi64ELi16ELi2E24rocblas_internal_val_ptrIfEPKPKfPKPfEvbbiT2_T3_lllT4_lli.has_dyn_sized_stack, 0
	.set _ZL18rocblas_spr_kernelILi64ELi16ELi2E24rocblas_internal_val_ptrIfEPKPKfPKPfEvbbiT2_T3_lllT4_lli.has_recursion, 0
	.set _ZL18rocblas_spr_kernelILi64ELi16ELi2E24rocblas_internal_val_ptrIfEPKPKfPKPfEvbbiT2_T3_lllT4_lli.has_indirect_call, 0
	.section	.AMDGPU.csdata,"",@progbits
; Kernel info:
; codeLenInByte = 776
; TotalNumSgprs: 28
; NumVgprs: 11
; ScratchSize: 0
; MemoryBound: 0
; FloatMode: 240
; IeeeMode: 1
; LDSByteSize: 0 bytes/workgroup (compile time only)
; SGPRBlocks: 3
; VGPRBlocks: 2
; NumSGPRsForWavesPerEU: 28
; NumVGPRsForWavesPerEU: 11
; Occupancy: 10
; WaveLimiterHint : 1
; COMPUTE_PGM_RSRC2:SCRATCH_EN: 0
; COMPUTE_PGM_RSRC2:USER_SGPR: 6
; COMPUTE_PGM_RSRC2:TRAP_HANDLER: 0
; COMPUTE_PGM_RSRC2:TGID_X_EN: 1
; COMPUTE_PGM_RSRC2:TGID_Y_EN: 1
; COMPUTE_PGM_RSRC2:TGID_Z_EN: 1
; COMPUTE_PGM_RSRC2:TIDIG_COMP_CNT: 1
	.section	.text._ZL18rocblas_spr_kernelILi64ELi16ELi2E24rocblas_internal_val_ptrIdEPKPKdPKPdEvbbiT2_T3_lllT4_lli,"axG",@progbits,_ZL18rocblas_spr_kernelILi64ELi16ELi2E24rocblas_internal_val_ptrIdEPKPKdPKPdEvbbiT2_T3_lllT4_lli,comdat
	.globl	_ZL18rocblas_spr_kernelILi64ELi16ELi2E24rocblas_internal_val_ptrIdEPKPKdPKPdEvbbiT2_T3_lllT4_lli ; -- Begin function _ZL18rocblas_spr_kernelILi64ELi16ELi2E24rocblas_internal_val_ptrIdEPKPKdPKPdEvbbiT2_T3_lllT4_lli
	.p2align	8
	.type	_ZL18rocblas_spr_kernelILi64ELi16ELi2E24rocblas_internal_val_ptrIdEPKPKdPKPdEvbbiT2_T3_lllT4_lli,@function
_ZL18rocblas_spr_kernelILi64ELi16ELi2E24rocblas_internal_val_ptrIdEPKPKdPKPdEvbbiT2_T3_lllT4_lli: ; @_ZL18rocblas_spr_kernelILi64ELi16ELi2E24rocblas_internal_val_ptrIdEPKPKdPKPdEvbbiT2_T3_lllT4_lli
; %bb.0:
	s_load_dword s0, s[4:5], 0x0
	s_load_dwordx8 s[12:19], s[4:5], 0x8
	s_waitcnt lgkmcnt(0)
	s_bitcmp1_b32 s0, 0
	s_cselect_b64 s[0:1], -1, 0
	v_mov_b32_e32 v2, s12
	s_and_b64 vcc, exec, s[0:1]
	v_mov_b32_e32 v3, s13
	s_cbranch_vccnz .LBB5_2
; %bb.1:
	v_mov_b32_e32 v2, s12
	v_mov_b32_e32 v3, s13
	flat_load_dwordx2 v[2:3], v[2:3]
.LBB5_2:
	s_waitcnt vmcnt(0) lgkmcnt(0)
	v_cmp_neq_f64_e32 vcc, 0, v[2:3]
	s_and_saveexec_b64 s[0:1], vcc
	s_cbranch_execz .LBB5_19
; %bb.3:
	s_load_dwordx2 s[10:11], s[4:5], 0x0
	s_load_dwordx4 s[0:3], s[4:5], 0x30
	s_mov_b32 s9, 0
	s_mov_b64 s[12:13], -1
	v_lshl_add_u32 v7, s6, 7, v0
	s_waitcnt lgkmcnt(0)
	s_bitcmp1_b32 s10, 8
	s_cselect_b64 s[4:5], -1, 0
	s_lshl_b64 s[20:21], s[8:9], 3
	s_xor_b64 s[4:5], s[4:5], -1
	s_add_u32 s0, s0, s20
	s_addc_u32 s1, s1, s21
	s_load_dwordx2 s[8:9], s[0:1], 0x0
	s_add_u32 s0, s14, s20
	s_addc_u32 s1, s15, s21
	s_load_dwordx2 s[0:1], s[0:1], 0x0
	v_lshl_add_u32 v4, s7, 4, v1
	s_and_b64 vcc, exec, s[4:5]
                                        ; implicit-def: $vgpr0
	s_cbranch_vccz .LBB5_5
; %bb.4:
	s_lshl_b32 s6, s11, 1
	v_sub_u32_e32 v0, s6, v4
	v_mad_u64_u32 v[0:1], s[6:7], v4, v0, v[4:5]
	v_sub_u32_e32 v1, v7, v4
	s_mov_b64 s[12:13], 0
	v_lshrrev_b32_e32 v5, 31, v0
	v_add_u32_e32 v0, v0, v5
	v_ashrrev_i32_e32 v0, 1, v0
	v_add_u32_e32 v0, v1, v0
.LBB5_5:
	s_andn2_b64 vcc, exec, s[12:13]
	s_cbranch_vccnz .LBB5_7
; %bb.6:
	v_mad_u64_u32 v[0:1], s[6:7], v4, v4, v[4:5]
	v_lshrrev_b32_e32 v1, 31, v0
	v_add_u32_e32 v0, v0, v1
	v_ashrrev_i32_e32 v0, 1, v0
	v_add_u32_e32 v0, v0, v7
.LBB5_7:
	v_ashrrev_i32_e32 v1, 31, v4
	v_mul_lo_u32 v8, s19, v4
	v_mul_lo_u32 v1, s18, v1
	v_mad_u64_u32 v[5:6], s[6:7], s18, v4, 0
	s_lshl_b64 s[2:3], s[2:3], 3
	s_waitcnt lgkmcnt(0)
	s_add_u32 s8, s8, s2
	s_addc_u32 s9, s9, s3
	s_lshl_b64 s[2:3], s[16:17], 3
	s_add_u32 s10, s0, s2
	v_add3_u32 v6, v6, v1, v8
	s_addc_u32 s12, s1, s3
	v_lshlrev_b64 v[5:6], 3, v[5:6]
	v_cmp_le_i32_e64 s[0:1], s11, v4
	v_mov_b32_e32 v1, s12
	s_and_b64 vcc, exec, s[4:5]
	s_cbranch_vccz .LBB5_9
; %bb.8:
	v_cmp_gt_i32_e32 vcc, s11, v7
	v_cmp_ge_i32_e64 s[2:3], v7, v4
	s_and_b64 s[6:7], s[2:3], vcc
	s_and_b64 s[6:7], s[6:7], exec
	v_add_co_u32_e64 v5, s[2:3], s10, v5
	v_addc_co_u32_e64 v6, s[2:3], v1, v6, s[2:3]
	s_cbranch_execz .LBB5_10
	s_branch .LBB5_11
.LBB5_9:
	s_mov_b64 s[6:7], 0
	v_add_co_u32_e64 v5, s[2:3], s10, v5
	v_addc_co_u32_e64 v6, s[2:3], v1, v6, s[2:3]
.LBB5_10:
	v_cmp_le_i32_e32 vcc, v7, v4
	s_xor_b64 s[2:3], s[0:1], -1
	s_and_b64 s[2:3], vcc, s[2:3]
	s_andn2_b64 s[6:7], s[6:7], exec
	s_and_b64 s[2:3], s[2:3], exec
	s_or_b64 s[6:7], s[6:7], s[2:3]
.LBB5_11:
	v_ashrrev_i32_e32 v1, 31, v0
	s_and_saveexec_b64 s[2:3], s[6:7]
	s_cbranch_execnz .LBB5_14
; %bb.12:
	s_or_b64 exec, exec, s[2:3]
	s_andn2_b64 vcc, exec, s[4:5]
	v_add_u32_e32 v7, 64, v7
	s_cbranch_vccnz .LBB5_15
.LBB5_13:
	v_cmp_gt_i32_e32 vcc, s11, v7
	v_cmp_le_i32_e64 s[2:3], v4, v7
	s_and_b64 s[2:3], s[2:3], vcc
	s_and_b64 s[2:3], s[2:3], exec
	s_cbranch_execz .LBB5_16
	s_branch .LBB5_17
.LBB5_14:
	v_ashrrev_i32_e32 v10, 31, v7
	v_mul_lo_u32 v11, s19, v7
	v_mad_u64_u32 v[8:9], s[6:7], s18, v7, 0
	v_mul_lo_u32 v10, s18, v10
	v_mov_b32_e32 v14, s9
	v_add3_u32 v9, v9, v10, v11
	v_lshlrev_b64 v[8:9], 3, v[8:9]
	v_mov_b32_e32 v10, s12
	v_add_co_u32_e32 v8, vcc, s10, v8
	v_addc_co_u32_e32 v9, vcc, v10, v9, vcc
	flat_load_dwordx2 v[10:11], v[8:9]
	flat_load_dwordx2 v[12:13], v[5:6]
	v_lshlrev_b64 v[8:9], 3, v[0:1]
	v_add_co_u32_e32 v8, vcc, s8, v8
	v_addc_co_u32_e32 v9, vcc, v14, v9, vcc
	flat_load_dwordx2 v[14:15], v[8:9]
	s_waitcnt vmcnt(0) lgkmcnt(0)
	v_mul_f64 v[10:11], v[2:3], v[10:11]
	v_fma_f64 v[10:11], v[10:11], v[12:13], v[14:15]
	flat_store_dwordx2 v[8:9], v[10:11]
	s_or_b64 exec, exec, s[2:3]
	s_andn2_b64 vcc, exec, s[4:5]
	v_add_u32_e32 v7, 64, v7
	s_cbranch_vccz .LBB5_13
.LBB5_15:
	s_mov_b64 s[2:3], 0
.LBB5_16:
	v_cmp_le_i32_e32 vcc, v7, v4
	s_xor_b64 s[0:1], s[0:1], -1
	s_and_b64 s[0:1], s[0:1], vcc
	s_andn2_b64 s[2:3], s[2:3], exec
	s_and_b64 s[0:1], s[0:1], exec
	s_or_b64 s[2:3], s[2:3], s[0:1]
.LBB5_17:
	s_and_b64 exec, exec, s[2:3]
	s_cbranch_execz .LBB5_19
; %bb.18:
	v_ashrrev_i32_e32 v4, 31, v7
	v_mul_lo_u32 v9, s19, v7
	v_mad_u64_u32 v[7:8], s[0:1], s18, v7, 0
	v_mul_lo_u32 v4, s18, v4
	v_lshlrev_b64 v[0:1], 3, v[0:1]
	v_add3_u32 v8, v8, v4, v9
	v_lshlrev_b64 v[7:8], 3, v[7:8]
	v_mov_b32_e32 v4, s12
	v_add_co_u32_e32 v7, vcc, s10, v7
	v_addc_co_u32_e32 v8, vcc, v4, v8, vcc
	flat_load_dwordx2 v[9:10], v[7:8]
	flat_load_dwordx2 v[11:12], v[5:6]
	v_mov_b32_e32 v4, s9
	v_add_co_u32_e32 v0, vcc, s8, v0
	v_addc_co_u32_e32 v1, vcc, v4, v1, vcc
	flat_load_dwordx2 v[4:5], v[0:1] offset:512
	s_waitcnt vmcnt(0) lgkmcnt(0)
	v_mul_f64 v[2:3], v[2:3], v[9:10]
	v_fma_f64 v[2:3], v[2:3], v[11:12], v[4:5]
	flat_store_dwordx2 v[0:1], v[2:3] offset:512
.LBB5_19:
	s_endpgm
	.section	.rodata,"a",@progbits
	.p2align	6, 0x0
	.amdhsa_kernel _ZL18rocblas_spr_kernelILi64ELi16ELi2E24rocblas_internal_val_ptrIdEPKPKdPKPdEvbbiT2_T3_lllT4_lli
		.amdhsa_group_segment_fixed_size 0
		.amdhsa_private_segment_fixed_size 0
		.amdhsa_kernarg_size 76
		.amdhsa_user_sgpr_count 6
		.amdhsa_user_sgpr_private_segment_buffer 1
		.amdhsa_user_sgpr_dispatch_ptr 0
		.amdhsa_user_sgpr_queue_ptr 0
		.amdhsa_user_sgpr_kernarg_segment_ptr 1
		.amdhsa_user_sgpr_dispatch_id 0
		.amdhsa_user_sgpr_flat_scratch_init 0
		.amdhsa_user_sgpr_private_segment_size 0
		.amdhsa_uses_dynamic_stack 0
		.amdhsa_system_sgpr_private_segment_wavefront_offset 0
		.amdhsa_system_sgpr_workgroup_id_x 1
		.amdhsa_system_sgpr_workgroup_id_y 1
		.amdhsa_system_sgpr_workgroup_id_z 1
		.amdhsa_system_sgpr_workgroup_info 0
		.amdhsa_system_vgpr_workitem_id 1
		.amdhsa_next_free_vgpr 16
		.amdhsa_next_free_sgpr 22
		.amdhsa_reserve_vcc 1
		.amdhsa_reserve_flat_scratch 0
		.amdhsa_float_round_mode_32 0
		.amdhsa_float_round_mode_16_64 0
		.amdhsa_float_denorm_mode_32 3
		.amdhsa_float_denorm_mode_16_64 3
		.amdhsa_dx10_clamp 1
		.amdhsa_ieee_mode 1
		.amdhsa_fp16_overflow 0
		.amdhsa_exception_fp_ieee_invalid_op 0
		.amdhsa_exception_fp_denorm_src 0
		.amdhsa_exception_fp_ieee_div_zero 0
		.amdhsa_exception_fp_ieee_overflow 0
		.amdhsa_exception_fp_ieee_underflow 0
		.amdhsa_exception_fp_ieee_inexact 0
		.amdhsa_exception_int_div_zero 0
	.end_amdhsa_kernel
	.section	.text._ZL18rocblas_spr_kernelILi64ELi16ELi2E24rocblas_internal_val_ptrIdEPKPKdPKPdEvbbiT2_T3_lllT4_lli,"axG",@progbits,_ZL18rocblas_spr_kernelILi64ELi16ELi2E24rocblas_internal_val_ptrIdEPKPKdPKPdEvbbiT2_T3_lllT4_lli,comdat
.Lfunc_end5:
	.size	_ZL18rocblas_spr_kernelILi64ELi16ELi2E24rocblas_internal_val_ptrIdEPKPKdPKPdEvbbiT2_T3_lllT4_lli, .Lfunc_end5-_ZL18rocblas_spr_kernelILi64ELi16ELi2E24rocblas_internal_val_ptrIdEPKPKdPKPdEvbbiT2_T3_lllT4_lli
                                        ; -- End function
	.set _ZL18rocblas_spr_kernelILi64ELi16ELi2E24rocblas_internal_val_ptrIdEPKPKdPKPdEvbbiT2_T3_lllT4_lli.num_vgpr, 16
	.set _ZL18rocblas_spr_kernelILi64ELi16ELi2E24rocblas_internal_val_ptrIdEPKPKdPKPdEvbbiT2_T3_lllT4_lli.num_agpr, 0
	.set _ZL18rocblas_spr_kernelILi64ELi16ELi2E24rocblas_internal_val_ptrIdEPKPKdPKPdEvbbiT2_T3_lllT4_lli.numbered_sgpr, 22
	.set _ZL18rocblas_spr_kernelILi64ELi16ELi2E24rocblas_internal_val_ptrIdEPKPKdPKPdEvbbiT2_T3_lllT4_lli.num_named_barrier, 0
	.set _ZL18rocblas_spr_kernelILi64ELi16ELi2E24rocblas_internal_val_ptrIdEPKPKdPKPdEvbbiT2_T3_lllT4_lli.private_seg_size, 0
	.set _ZL18rocblas_spr_kernelILi64ELi16ELi2E24rocblas_internal_val_ptrIdEPKPKdPKPdEvbbiT2_T3_lllT4_lli.uses_vcc, 1
	.set _ZL18rocblas_spr_kernelILi64ELi16ELi2E24rocblas_internal_val_ptrIdEPKPKdPKPdEvbbiT2_T3_lllT4_lli.uses_flat_scratch, 0
	.set _ZL18rocblas_spr_kernelILi64ELi16ELi2E24rocblas_internal_val_ptrIdEPKPKdPKPdEvbbiT2_T3_lllT4_lli.has_dyn_sized_stack, 0
	.set _ZL18rocblas_spr_kernelILi64ELi16ELi2E24rocblas_internal_val_ptrIdEPKPKdPKPdEvbbiT2_T3_lllT4_lli.has_recursion, 0
	.set _ZL18rocblas_spr_kernelILi64ELi16ELi2E24rocblas_internal_val_ptrIdEPKPKdPKPdEvbbiT2_T3_lllT4_lli.has_indirect_call, 0
	.section	.AMDGPU.csdata,"",@progbits
; Kernel info:
; codeLenInByte = 796
; TotalNumSgprs: 26
; NumVgprs: 16
; ScratchSize: 0
; MemoryBound: 0
; FloatMode: 240
; IeeeMode: 1
; LDSByteSize: 0 bytes/workgroup (compile time only)
; SGPRBlocks: 3
; VGPRBlocks: 3
; NumSGPRsForWavesPerEU: 26
; NumVGPRsForWavesPerEU: 16
; Occupancy: 10
; WaveLimiterHint : 1
; COMPUTE_PGM_RSRC2:SCRATCH_EN: 0
; COMPUTE_PGM_RSRC2:USER_SGPR: 6
; COMPUTE_PGM_RSRC2:TRAP_HANDLER: 0
; COMPUTE_PGM_RSRC2:TGID_X_EN: 1
; COMPUTE_PGM_RSRC2:TGID_Y_EN: 1
; COMPUTE_PGM_RSRC2:TGID_Z_EN: 1
; COMPUTE_PGM_RSRC2:TIDIG_COMP_CNT: 1
	.section	.text._ZL18rocblas_spr_kernelILi64ELi16ELi2E24rocblas_internal_val_ptrI19rocblas_complex_numIfEEPKPKS2_PKPS2_EvbbiT2_T3_lllT4_lli,"axG",@progbits,_ZL18rocblas_spr_kernelILi64ELi16ELi2E24rocblas_internal_val_ptrI19rocblas_complex_numIfEEPKPKS2_PKPS2_EvbbiT2_T3_lllT4_lli,comdat
	.globl	_ZL18rocblas_spr_kernelILi64ELi16ELi2E24rocblas_internal_val_ptrI19rocblas_complex_numIfEEPKPKS2_PKPS2_EvbbiT2_T3_lllT4_lli ; -- Begin function _ZL18rocblas_spr_kernelILi64ELi16ELi2E24rocblas_internal_val_ptrI19rocblas_complex_numIfEEPKPKS2_PKPS2_EvbbiT2_T3_lllT4_lli
	.p2align	8
	.type	_ZL18rocblas_spr_kernelILi64ELi16ELi2E24rocblas_internal_val_ptrI19rocblas_complex_numIfEEPKPKS2_PKPS2_EvbbiT2_T3_lllT4_lli,@function
_ZL18rocblas_spr_kernelILi64ELi16ELi2E24rocblas_internal_val_ptrI19rocblas_complex_numIfEEPKPKS2_PKPS2_EvbbiT2_T3_lllT4_lli: ; @_ZL18rocblas_spr_kernelILi64ELi16ELi2E24rocblas_internal_val_ptrI19rocblas_complex_numIfEEPKPKS2_PKPS2_EvbbiT2_T3_lllT4_lli
; %bb.0:
	s_load_dword s0, s[4:5], 0x0
	s_load_dwordx8 s[12:19], s[4:5], 0x8
	s_waitcnt lgkmcnt(0)
	s_bitcmp0_b32 s0, 0
	s_cbranch_scc0 .LBB6_2
; %bb.1:
	s_load_dwordx2 s[10:11], s[12:13], 0x0
	s_cbranch_execz .LBB6_3
	s_branch .LBB6_4
.LBB6_2:
                                        ; implicit-def: $sgpr10
.LBB6_3:
	s_waitcnt lgkmcnt(0)
	s_mov_b32 s11, s13
	s_mov_b32 s10, s12
.LBB6_4:
	s_waitcnt lgkmcnt(0)
	v_cmp_neq_f32_e64 s[0:1], s10, 0
	v_cmp_neq_f32_e64 s[2:3], s11, 0
	s_or_b64 s[0:1], s[0:1], s[2:3]
	s_andn2_b64 vcc, exec, s[0:1]
	s_mov_b32 s9, 0
	s_cbranch_vccnz .LBB6_21
; %bb.5:
	s_load_dwordx2 s[12:13], s[4:5], 0x0
	s_load_dwordx4 s[0:3], s[4:5], 0x30
	s_mov_b64 s[20:21], -1
	v_lshl_add_u32 v5, s6, 7, v0
	v_lshl_add_u32 v2, s7, 4, v1
	s_waitcnt lgkmcnt(0)
	s_bitcmp1_b32 s12, 8
	s_cselect_b64 s[4:5], -1, 0
	s_lshl_b64 s[22:23], s[8:9], 3
	s_xor_b64 s[4:5], s[4:5], -1
	s_add_u32 s0, s0, s22
	s_addc_u32 s1, s1, s23
	s_load_dwordx2 s[8:9], s[0:1], 0x0
	s_add_u32 s0, s14, s22
	s_addc_u32 s1, s15, s23
	s_load_dwordx2 s[0:1], s[0:1], 0x0
	s_and_b64 vcc, exec, s[4:5]
                                        ; implicit-def: $vgpr0
	s_cbranch_vccz .LBB6_7
; %bb.6:
	s_lshl_b32 s6, s13, 1
	v_sub_u32_e32 v0, s6, v2
	v_mad_u64_u32 v[0:1], s[6:7], v2, v0, v[2:3]
	v_sub_u32_e32 v1, v5, v2
	s_mov_b64 s[20:21], 0
	v_lshrrev_b32_e32 v3, 31, v0
	v_add_u32_e32 v0, v0, v3
	v_ashrrev_i32_e32 v0, 1, v0
	v_add_u32_e32 v0, v1, v0
.LBB6_7:
	s_andn2_b64 vcc, exec, s[20:21]
	s_cbranch_vccnz .LBB6_9
; %bb.8:
	v_mad_u64_u32 v[0:1], s[6:7], v2, v2, v[2:3]
	v_lshrrev_b32_e32 v1, 31, v0
	v_add_u32_e32 v0, v0, v1
	v_ashrrev_i32_e32 v0, 1, v0
	v_add_u32_e32 v0, v0, v5
.LBB6_9:
	v_ashrrev_i32_e32 v1, 31, v2
	v_mul_lo_u32 v6, s19, v2
	v_mul_lo_u32 v1, s18, v1
	v_mad_u64_u32 v[3:4], s[6:7], s18, v2, 0
	s_lshl_b64 s[2:3], s[2:3], 3
	s_waitcnt lgkmcnt(0)
	s_add_u32 s8, s8, s2
	s_addc_u32 s9, s9, s3
	s_lshl_b64 s[2:3], s[16:17], 3
	s_add_u32 s12, s0, s2
	v_add3_u32 v4, v4, v1, v6
	s_addc_u32 s14, s1, s3
	v_lshlrev_b64 v[3:4], 3, v[3:4]
	v_cmp_le_i32_e64 s[0:1], s13, v2
	v_mov_b32_e32 v1, s14
	s_and_b64 vcc, exec, s[4:5]
	s_cbranch_vccz .LBB6_11
; %bb.10:
	v_cmp_gt_i32_e32 vcc, s13, v5
	v_cmp_ge_i32_e64 s[2:3], v5, v2
	s_and_b64 s[6:7], s[2:3], vcc
	s_and_b64 s[6:7], s[6:7], exec
	v_add_co_u32_e64 v3, s[2:3], s12, v3
	v_addc_co_u32_e64 v4, s[2:3], v1, v4, s[2:3]
	s_cbranch_execz .LBB6_12
	s_branch .LBB6_13
.LBB6_11:
	s_mov_b64 s[6:7], 0
	v_add_co_u32_e64 v3, s[2:3], s12, v3
	v_addc_co_u32_e64 v4, s[2:3], v1, v4, s[2:3]
.LBB6_12:
	v_cmp_le_i32_e32 vcc, v5, v2
	s_xor_b64 s[2:3], s[0:1], -1
	s_and_b64 s[2:3], vcc, s[2:3]
	s_andn2_b64 s[6:7], s[6:7], exec
	s_and_b64 s[2:3], s[2:3], exec
	s_or_b64 s[6:7], s[6:7], s[2:3]
.LBB6_13:
	v_ashrrev_i32_e32 v1, 31, v0
	s_and_saveexec_b64 s[2:3], s[6:7]
	s_cbranch_execnz .LBB6_16
; %bb.14:
	s_or_b64 exec, exec, s[2:3]
	s_andn2_b64 vcc, exec, s[4:5]
	v_add_u32_e32 v5, 64, v5
	s_cbranch_vccnz .LBB6_17
.LBB6_15:
	v_cmp_gt_i32_e32 vcc, s13, v5
	v_cmp_le_i32_e64 s[2:3], v2, v5
	s_and_b64 s[2:3], s[2:3], vcc
	s_and_b64 s[2:3], s[2:3], exec
	s_cbranch_execz .LBB6_18
	s_branch .LBB6_19
.LBB6_16:
	v_ashrrev_i32_e32 v8, 31, v5
	v_mul_lo_u32 v9, s19, v5
	v_mad_u64_u32 v[6:7], s[6:7], s18, v5, 0
	v_mul_lo_u32 v8, s18, v8
	v_mov_b32_e32 v12, s9
	v_add3_u32 v7, v7, v8, v9
	v_lshlrev_b64 v[6:7], 3, v[6:7]
	v_mov_b32_e32 v8, s14
	v_add_co_u32_e32 v6, vcc, s12, v6
	v_addc_co_u32_e32 v7, vcc, v8, v7, vcc
	flat_load_dwordx2 v[8:9], v[6:7]
	flat_load_dwordx2 v[10:11], v[3:4]
	v_lshlrev_b64 v[6:7], 3, v[0:1]
	v_add_co_u32_e32 v6, vcc, s8, v6
	v_addc_co_u32_e32 v7, vcc, v12, v7, vcc
	flat_load_dwordx2 v[12:13], v[6:7]
	s_waitcnt vmcnt(0) lgkmcnt(0)
	v_mul_f32_e32 v14, s11, v9
	v_mul_f32_e32 v9, s10, v9
	v_fmac_f32_e32 v9, s11, v8
	v_fma_f32 v14, s10, v8, -v14
	v_mul_f32_e32 v8, v11, v9
	v_mul_f32_e32 v9, v10, v9
	v_fma_f32 v8, v10, v14, -v8
	v_fmac_f32_e32 v9, v11, v14
	v_add_f32_e32 v8, v12, v8
	v_add_f32_e32 v9, v9, v13
	flat_store_dwordx2 v[6:7], v[8:9]
	s_or_b64 exec, exec, s[2:3]
	s_andn2_b64 vcc, exec, s[4:5]
	v_add_u32_e32 v5, 64, v5
	s_cbranch_vccz .LBB6_15
.LBB6_17:
	s_mov_b64 s[2:3], 0
.LBB6_18:
	v_cmp_le_i32_e32 vcc, v5, v2
	s_xor_b64 s[0:1], s[0:1], -1
	s_and_b64 s[0:1], s[0:1], vcc
	s_andn2_b64 s[2:3], s[2:3], exec
	s_and_b64 s[0:1], s[0:1], exec
	s_or_b64 s[2:3], s[2:3], s[0:1]
.LBB6_19:
	s_and_saveexec_b64 s[0:1], s[2:3]
	s_cbranch_execz .LBB6_21
; %bb.20:
	v_ashrrev_i32_e32 v2, 31, v5
	v_mul_lo_u32 v7, s19, v5
	v_mad_u64_u32 v[5:6], s[0:1], s18, v5, 0
	v_mul_lo_u32 v2, s18, v2
	v_lshlrev_b64 v[0:1], 3, v[0:1]
	v_add3_u32 v6, v6, v2, v7
	v_lshlrev_b64 v[5:6], 3, v[5:6]
	v_mov_b32_e32 v2, s14
	v_add_co_u32_e32 v5, vcc, s12, v5
	v_addc_co_u32_e32 v6, vcc, v2, v6, vcc
	flat_load_dwordx2 v[7:8], v[5:6]
	flat_load_dwordx2 v[9:10], v[3:4]
	v_mov_b32_e32 v2, s9
	v_add_co_u32_e32 v0, vcc, s8, v0
	v_addc_co_u32_e32 v1, vcc, v2, v1, vcc
	flat_load_dwordx2 v[2:3], v[0:1] offset:512
	s_waitcnt vmcnt(0) lgkmcnt(0)
	v_mul_f32_e32 v5, s10, v8
	v_mul_f32_e32 v4, s11, v8
	v_fmac_f32_e32 v5, s11, v7
	v_fma_f32 v4, s10, v7, -v4
	v_mul_f32_e32 v6, v10, v5
	v_mul_f32_e32 v5, v9, v5
	v_fma_f32 v6, v9, v4, -v6
	v_fmac_f32_e32 v5, v10, v4
	v_add_f32_e32 v2, v2, v6
	v_add_f32_e32 v3, v5, v3
	flat_store_dwordx2 v[0:1], v[2:3] offset:512
.LBB6_21:
	s_endpgm
	.section	.rodata,"a",@progbits
	.p2align	6, 0x0
	.amdhsa_kernel _ZL18rocblas_spr_kernelILi64ELi16ELi2E24rocblas_internal_val_ptrI19rocblas_complex_numIfEEPKPKS2_PKPS2_EvbbiT2_T3_lllT4_lli
		.amdhsa_group_segment_fixed_size 0
		.amdhsa_private_segment_fixed_size 0
		.amdhsa_kernarg_size 76
		.amdhsa_user_sgpr_count 6
		.amdhsa_user_sgpr_private_segment_buffer 1
		.amdhsa_user_sgpr_dispatch_ptr 0
		.amdhsa_user_sgpr_queue_ptr 0
		.amdhsa_user_sgpr_kernarg_segment_ptr 1
		.amdhsa_user_sgpr_dispatch_id 0
		.amdhsa_user_sgpr_flat_scratch_init 0
		.amdhsa_user_sgpr_private_segment_size 0
		.amdhsa_uses_dynamic_stack 0
		.amdhsa_system_sgpr_private_segment_wavefront_offset 0
		.amdhsa_system_sgpr_workgroup_id_x 1
		.amdhsa_system_sgpr_workgroup_id_y 1
		.amdhsa_system_sgpr_workgroup_id_z 1
		.amdhsa_system_sgpr_workgroup_info 0
		.amdhsa_system_vgpr_workitem_id 1
		.amdhsa_next_free_vgpr 15
		.amdhsa_next_free_sgpr 24
		.amdhsa_reserve_vcc 1
		.amdhsa_reserve_flat_scratch 0
		.amdhsa_float_round_mode_32 0
		.amdhsa_float_round_mode_16_64 0
		.amdhsa_float_denorm_mode_32 3
		.amdhsa_float_denorm_mode_16_64 3
		.amdhsa_dx10_clamp 1
		.amdhsa_ieee_mode 1
		.amdhsa_fp16_overflow 0
		.amdhsa_exception_fp_ieee_invalid_op 0
		.amdhsa_exception_fp_denorm_src 0
		.amdhsa_exception_fp_ieee_div_zero 0
		.amdhsa_exception_fp_ieee_overflow 0
		.amdhsa_exception_fp_ieee_underflow 0
		.amdhsa_exception_fp_ieee_inexact 0
		.amdhsa_exception_int_div_zero 0
	.end_amdhsa_kernel
	.section	.text._ZL18rocblas_spr_kernelILi64ELi16ELi2E24rocblas_internal_val_ptrI19rocblas_complex_numIfEEPKPKS2_PKPS2_EvbbiT2_T3_lllT4_lli,"axG",@progbits,_ZL18rocblas_spr_kernelILi64ELi16ELi2E24rocblas_internal_val_ptrI19rocblas_complex_numIfEEPKPKS2_PKPS2_EvbbiT2_T3_lllT4_lli,comdat
.Lfunc_end6:
	.size	_ZL18rocblas_spr_kernelILi64ELi16ELi2E24rocblas_internal_val_ptrI19rocblas_complex_numIfEEPKPKS2_PKPS2_EvbbiT2_T3_lllT4_lli, .Lfunc_end6-_ZL18rocblas_spr_kernelILi64ELi16ELi2E24rocblas_internal_val_ptrI19rocblas_complex_numIfEEPKPKS2_PKPS2_EvbbiT2_T3_lllT4_lli
                                        ; -- End function
	.set _ZL18rocblas_spr_kernelILi64ELi16ELi2E24rocblas_internal_val_ptrI19rocblas_complex_numIfEEPKPKS2_PKPS2_EvbbiT2_T3_lllT4_lli.num_vgpr, 15
	.set _ZL18rocblas_spr_kernelILi64ELi16ELi2E24rocblas_internal_val_ptrI19rocblas_complex_numIfEEPKPKS2_PKPS2_EvbbiT2_T3_lllT4_lli.num_agpr, 0
	.set _ZL18rocblas_spr_kernelILi64ELi16ELi2E24rocblas_internal_val_ptrI19rocblas_complex_numIfEEPKPKS2_PKPS2_EvbbiT2_T3_lllT4_lli.numbered_sgpr, 24
	.set _ZL18rocblas_spr_kernelILi64ELi16ELi2E24rocblas_internal_val_ptrI19rocblas_complex_numIfEEPKPKS2_PKPS2_EvbbiT2_T3_lllT4_lli.num_named_barrier, 0
	.set _ZL18rocblas_spr_kernelILi64ELi16ELi2E24rocblas_internal_val_ptrI19rocblas_complex_numIfEEPKPKS2_PKPS2_EvbbiT2_T3_lllT4_lli.private_seg_size, 0
	.set _ZL18rocblas_spr_kernelILi64ELi16ELi2E24rocblas_internal_val_ptrI19rocblas_complex_numIfEEPKPKS2_PKPS2_EvbbiT2_T3_lllT4_lli.uses_vcc, 1
	.set _ZL18rocblas_spr_kernelILi64ELi16ELi2E24rocblas_internal_val_ptrI19rocblas_complex_numIfEEPKPKS2_PKPS2_EvbbiT2_T3_lllT4_lli.uses_flat_scratch, 0
	.set _ZL18rocblas_spr_kernelILi64ELi16ELi2E24rocblas_internal_val_ptrI19rocblas_complex_numIfEEPKPKS2_PKPS2_EvbbiT2_T3_lllT4_lli.has_dyn_sized_stack, 0
	.set _ZL18rocblas_spr_kernelILi64ELi16ELi2E24rocblas_internal_val_ptrI19rocblas_complex_numIfEEPKPKS2_PKPS2_EvbbiT2_T3_lllT4_lli.has_recursion, 0
	.set _ZL18rocblas_spr_kernelILi64ELi16ELi2E24rocblas_internal_val_ptrI19rocblas_complex_numIfEEPKPKS2_PKPS2_EvbbiT2_T3_lllT4_lli.has_indirect_call, 0
	.section	.AMDGPU.csdata,"",@progbits
; Kernel info:
; codeLenInByte = 872
; TotalNumSgprs: 28
; NumVgprs: 15
; ScratchSize: 0
; MemoryBound: 0
; FloatMode: 240
; IeeeMode: 1
; LDSByteSize: 0 bytes/workgroup (compile time only)
; SGPRBlocks: 3
; VGPRBlocks: 3
; NumSGPRsForWavesPerEU: 28
; NumVGPRsForWavesPerEU: 15
; Occupancy: 10
; WaveLimiterHint : 1
; COMPUTE_PGM_RSRC2:SCRATCH_EN: 0
; COMPUTE_PGM_RSRC2:USER_SGPR: 6
; COMPUTE_PGM_RSRC2:TRAP_HANDLER: 0
; COMPUTE_PGM_RSRC2:TGID_X_EN: 1
; COMPUTE_PGM_RSRC2:TGID_Y_EN: 1
; COMPUTE_PGM_RSRC2:TGID_Z_EN: 1
; COMPUTE_PGM_RSRC2:TIDIG_COMP_CNT: 1
	.section	.text._ZL18rocblas_spr_kernelILi64ELi16ELi1E24rocblas_internal_val_ptrI19rocblas_complex_numIdEEPKPKS2_PKPS2_EvbbiT2_T3_lllT4_lli,"axG",@progbits,_ZL18rocblas_spr_kernelILi64ELi16ELi1E24rocblas_internal_val_ptrI19rocblas_complex_numIdEEPKPKS2_PKPS2_EvbbiT2_T3_lllT4_lli,comdat
	.globl	_ZL18rocblas_spr_kernelILi64ELi16ELi1E24rocblas_internal_val_ptrI19rocblas_complex_numIdEEPKPKS2_PKPS2_EvbbiT2_T3_lllT4_lli ; -- Begin function _ZL18rocblas_spr_kernelILi64ELi16ELi1E24rocblas_internal_val_ptrI19rocblas_complex_numIdEEPKPKS2_PKPS2_EvbbiT2_T3_lllT4_lli
	.p2align	8
	.type	_ZL18rocblas_spr_kernelILi64ELi16ELi1E24rocblas_internal_val_ptrI19rocblas_complex_numIdEEPKPKS2_PKPS2_EvbbiT2_T3_lllT4_lli,@function
_ZL18rocblas_spr_kernelILi64ELi16ELi1E24rocblas_internal_val_ptrI19rocblas_complex_numIdEEPKPKS2_PKPS2_EvbbiT2_T3_lllT4_lli: ; @_ZL18rocblas_spr_kernelILi64ELi16ELi1E24rocblas_internal_val_ptrI19rocblas_complex_numIdEEPKPKS2_PKPS2_EvbbiT2_T3_lllT4_lli
; %bb.0:
	s_load_dword s2, s[4:5], 0x0
	s_load_dwordx2 s[0:1], s[4:5], 0x8
	s_waitcnt lgkmcnt(0)
	s_bitcmp0_b32 s2, 0
	s_cbranch_scc0 .LBB7_2
; %bb.1:
	s_load_dwordx4 s[12:15], s[0:1], 0x0
	s_cbranch_execz .LBB7_3
	s_branch .LBB7_4
.LBB7_2:
                                        ; implicit-def: $sgpr14_sgpr15
.LBB7_3:
	s_waitcnt lgkmcnt(0)
	s_load_dwordx2 s[14:15], s[4:5], 0x10
	s_mov_b64 s[12:13], s[0:1]
.LBB7_4:
	s_waitcnt lgkmcnt(0)
	v_cmp_neq_f64_e64 s[0:1], s[12:13], 0
	v_cmp_neq_f64_e64 s[2:3], s[14:15], 0
	s_or_b64 s[0:1], s[0:1], s[2:3]
	s_andn2_b64 vcc, exec, s[0:1]
	s_cbranch_vccnz .LBB7_15
; %bb.5:
	s_load_dwordx2 s[20:21], s[4:5], 0x0
	s_load_dwordx4 s[16:19], s[4:5], 0x18
	s_load_dwordx4 s[0:3], s[4:5], 0x38
	s_mov_b32 s9, 0
	s_mov_b64 s[24:25], -1
	s_waitcnt lgkmcnt(0)
	s_bitcmp1_b32 s20, 8
	s_cselect_b64 s[10:11], -1, 0
	s_xor_b64 s[22:23], s[10:11], -1
	s_lshl_b64 s[10:11], s[8:9], 3
	s_add_u32 s8, s0, s10
	s_addc_u32 s9, s1, s11
	s_add_u32 s10, s16, s10
	s_addc_u32 s11, s17, s11
	v_lshl_add_u32 v2, s6, 6, v0
	v_lshl_add_u32 v1, s7, 4, v1
	s_and_b64 vcc, exec, s[22:23]
                                        ; implicit-def: $vgpr0
	s_cbranch_vccnz .LBB7_9
; %bb.6:
	s_andn2_b64 vcc, exec, s[24:25]
	s_cbranch_vccz .LBB7_10
.LBB7_7:
	s_and_b64 vcc, exec, s[22:23]
	s_cbranch_vccz .LBB7_11
.LBB7_8:
	v_cmp_gt_i32_e32 vcc, s21, v2
	v_cmp_ge_i32_e64 s[0:1], v2, v1
	s_and_b64 s[6:7], s[0:1], vcc
	s_and_b64 s[6:7], s[6:7], exec
	s_cbranch_execz .LBB7_12
	s_branch .LBB7_13
.LBB7_9:
	s_lshl_b32 s0, s21, 1
	v_sub_u32_e32 v0, s0, v1
	v_mad_u64_u32 v[3:4], s[0:1], v1, v0, v[1:2]
	v_sub_u32_e32 v0, v2, v1
	v_lshrrev_b32_e32 v4, 31, v3
	v_add_u32_e32 v3, v3, v4
	v_ashrrev_i32_e32 v3, 1, v3
	v_add_u32_e32 v0, v0, v3
	s_cbranch_execnz .LBB7_7
.LBB7_10:
	v_mad_u64_u32 v[3:4], s[0:1], v1, v1, v[1:2]
	v_lshrrev_b32_e32 v0, 31, v3
	v_add_u32_e32 v0, v3, v0
	v_ashrrev_i32_e32 v0, 1, v0
	v_add_u32_e32 v0, v0, v2
	s_and_b64 vcc, exec, s[22:23]
	s_cbranch_vccnz .LBB7_8
.LBB7_11:
	s_mov_b64 s[6:7], 0
.LBB7_12:
	v_cmp_gt_i32_e32 vcc, s21, v1
	v_cmp_le_i32_e64 s[0:1], v2, v1
	s_and_b64 s[0:1], s[0:1], vcc
	s_andn2_b64 s[6:7], s[6:7], exec
	s_and_b64 s[0:1], s[0:1], exec
	s_or_b64 s[6:7], s[6:7], s[0:1]
.LBB7_13:
	s_and_saveexec_b64 s[0:1], s[6:7]
	s_cbranch_execz .LBB7_15
; %bb.14:
	s_load_dwordx2 s[0:1], s[4:5], 0x28
	s_load_dwordx2 s[6:7], s[10:11], 0x0
	v_ashrrev_i32_e32 v3, 31, v2
	v_ashrrev_i32_e32 v6, 31, v1
	s_waitcnt lgkmcnt(0)
	v_mul_lo_u32 v4, s1, v2
	v_mul_lo_u32 v5, s0, v3
	v_mad_u64_u32 v[2:3], s[4:5], s0, v2, 0
	s_lshl_b64 s[4:5], s[18:19], 4
	s_add_u32 s4, s6, s4
	v_add3_u32 v3, v3, v5, v4
	v_lshlrev_b64 v[2:3], 4, v[2:3]
	s_addc_u32 s5, s7, s5
	v_mov_b32_e32 v4, s5
	v_add_co_u32_e32 v2, vcc, s4, v2
	v_addc_co_u32_e32 v3, vcc, v4, v3, vcc
	flat_load_dwordx4 v[2:5], v[2:3]
	v_mul_lo_u32 v8, s1, v1
	v_mul_lo_u32 v9, s0, v6
	v_mad_u64_u32 v[6:7], s[0:1], s0, v1, 0
	v_mov_b32_e32 v1, s5
	s_load_dwordx2 s[0:1], s[8:9], 0x0
	v_add3_u32 v7, v7, v9, v8
	v_lshlrev_b64 v[6:7], 4, v[6:7]
	s_lshl_b64 s[2:3], s[2:3], 4
	v_add_co_u32_e32 v6, vcc, s4, v6
	v_addc_co_u32_e32 v7, vcc, v1, v7, vcc
	flat_load_dwordx4 v[6:9], v[6:7]
	v_ashrrev_i32_e32 v1, 31, v0
	v_lshlrev_b64 v[0:1], 4, v[0:1]
	s_waitcnt lgkmcnt(0)
	s_add_u32 s0, s0, s2
	s_addc_u32 s1, s1, s3
	v_mov_b32_e32 v10, s1
	v_add_co_u32_e32 v14, vcc, s0, v0
	v_addc_co_u32_e32 v15, vcc, v10, v1, vcc
	flat_load_dwordx4 v[10:13], v[14:15]
	s_waitcnt vmcnt(0)
	v_mul_f64 v[0:1], s[12:13], v[4:5]
	v_mul_f64 v[4:5], s[14:15], v[4:5]
	v_fma_f64 v[0:1], s[14:15], v[2:3], v[0:1]
	v_fma_f64 v[2:3], s[12:13], v[2:3], -v[4:5]
	v_mul_f64 v[4:5], v[8:9], v[0:1]
	v_mul_f64 v[0:1], v[6:7], v[0:1]
	v_fma_f64 v[4:5], v[6:7], v[2:3], -v[4:5]
	v_fma_f64 v[2:3], v[8:9], v[2:3], v[0:1]
	s_waitcnt lgkmcnt(0)
	v_add_f64 v[0:1], v[10:11], v[4:5]
	v_add_f64 v[2:3], v[2:3], v[12:13]
	flat_store_dwordx4 v[14:15], v[0:3]
.LBB7_15:
	s_endpgm
	.section	.rodata,"a",@progbits
	.p2align	6, 0x0
	.amdhsa_kernel _ZL18rocblas_spr_kernelILi64ELi16ELi1E24rocblas_internal_val_ptrI19rocblas_complex_numIdEEPKPKS2_PKPS2_EvbbiT2_T3_lllT4_lli
		.amdhsa_group_segment_fixed_size 0
		.amdhsa_private_segment_fixed_size 0
		.amdhsa_kernarg_size 84
		.amdhsa_user_sgpr_count 6
		.amdhsa_user_sgpr_private_segment_buffer 1
		.amdhsa_user_sgpr_dispatch_ptr 0
		.amdhsa_user_sgpr_queue_ptr 0
		.amdhsa_user_sgpr_kernarg_segment_ptr 1
		.amdhsa_user_sgpr_dispatch_id 0
		.amdhsa_user_sgpr_flat_scratch_init 0
		.amdhsa_user_sgpr_private_segment_size 0
		.amdhsa_uses_dynamic_stack 0
		.amdhsa_system_sgpr_private_segment_wavefront_offset 0
		.amdhsa_system_sgpr_workgroup_id_x 1
		.amdhsa_system_sgpr_workgroup_id_y 1
		.amdhsa_system_sgpr_workgroup_id_z 1
		.amdhsa_system_sgpr_workgroup_info 0
		.amdhsa_system_vgpr_workitem_id 1
		.amdhsa_next_free_vgpr 16
		.amdhsa_next_free_sgpr 26
		.amdhsa_reserve_vcc 1
		.amdhsa_reserve_flat_scratch 0
		.amdhsa_float_round_mode_32 0
		.amdhsa_float_round_mode_16_64 0
		.amdhsa_float_denorm_mode_32 3
		.amdhsa_float_denorm_mode_16_64 3
		.amdhsa_dx10_clamp 1
		.amdhsa_ieee_mode 1
		.amdhsa_fp16_overflow 0
		.amdhsa_exception_fp_ieee_invalid_op 0
		.amdhsa_exception_fp_denorm_src 0
		.amdhsa_exception_fp_ieee_div_zero 0
		.amdhsa_exception_fp_ieee_overflow 0
		.amdhsa_exception_fp_ieee_underflow 0
		.amdhsa_exception_fp_ieee_inexact 0
		.amdhsa_exception_int_div_zero 0
	.end_amdhsa_kernel
	.section	.text._ZL18rocblas_spr_kernelILi64ELi16ELi1E24rocblas_internal_val_ptrI19rocblas_complex_numIdEEPKPKS2_PKPS2_EvbbiT2_T3_lllT4_lli,"axG",@progbits,_ZL18rocblas_spr_kernelILi64ELi16ELi1E24rocblas_internal_val_ptrI19rocblas_complex_numIdEEPKPKS2_PKPS2_EvbbiT2_T3_lllT4_lli,comdat
.Lfunc_end7:
	.size	_ZL18rocblas_spr_kernelILi64ELi16ELi1E24rocblas_internal_val_ptrI19rocblas_complex_numIdEEPKPKS2_PKPS2_EvbbiT2_T3_lllT4_lli, .Lfunc_end7-_ZL18rocblas_spr_kernelILi64ELi16ELi1E24rocblas_internal_val_ptrI19rocblas_complex_numIdEEPKPKS2_PKPS2_EvbbiT2_T3_lllT4_lli
                                        ; -- End function
	.set _ZL18rocblas_spr_kernelILi64ELi16ELi1E24rocblas_internal_val_ptrI19rocblas_complex_numIdEEPKPKS2_PKPS2_EvbbiT2_T3_lllT4_lli.num_vgpr, 16
	.set _ZL18rocblas_spr_kernelILi64ELi16ELi1E24rocblas_internal_val_ptrI19rocblas_complex_numIdEEPKPKS2_PKPS2_EvbbiT2_T3_lllT4_lli.num_agpr, 0
	.set _ZL18rocblas_spr_kernelILi64ELi16ELi1E24rocblas_internal_val_ptrI19rocblas_complex_numIdEEPKPKS2_PKPS2_EvbbiT2_T3_lllT4_lli.numbered_sgpr, 26
	.set _ZL18rocblas_spr_kernelILi64ELi16ELi1E24rocblas_internal_val_ptrI19rocblas_complex_numIdEEPKPKS2_PKPS2_EvbbiT2_T3_lllT4_lli.num_named_barrier, 0
	.set _ZL18rocblas_spr_kernelILi64ELi16ELi1E24rocblas_internal_val_ptrI19rocblas_complex_numIdEEPKPKS2_PKPS2_EvbbiT2_T3_lllT4_lli.private_seg_size, 0
	.set _ZL18rocblas_spr_kernelILi64ELi16ELi1E24rocblas_internal_val_ptrI19rocblas_complex_numIdEEPKPKS2_PKPS2_EvbbiT2_T3_lllT4_lli.uses_vcc, 1
	.set _ZL18rocblas_spr_kernelILi64ELi16ELi1E24rocblas_internal_val_ptrI19rocblas_complex_numIdEEPKPKS2_PKPS2_EvbbiT2_T3_lllT4_lli.uses_flat_scratch, 0
	.set _ZL18rocblas_spr_kernelILi64ELi16ELi1E24rocblas_internal_val_ptrI19rocblas_complex_numIdEEPKPKS2_PKPS2_EvbbiT2_T3_lllT4_lli.has_dyn_sized_stack, 0
	.set _ZL18rocblas_spr_kernelILi64ELi16ELi1E24rocblas_internal_val_ptrI19rocblas_complex_numIdEEPKPKS2_PKPS2_EvbbiT2_T3_lllT4_lli.has_recursion, 0
	.set _ZL18rocblas_spr_kernelILi64ELi16ELi1E24rocblas_internal_val_ptrI19rocblas_complex_numIdEEPKPKS2_PKPS2_EvbbiT2_T3_lllT4_lli.has_indirect_call, 0
	.section	.AMDGPU.csdata,"",@progbits
; Kernel info:
; codeLenInByte = 656
; TotalNumSgprs: 30
; NumVgprs: 16
; ScratchSize: 0
; MemoryBound: 0
; FloatMode: 240
; IeeeMode: 1
; LDSByteSize: 0 bytes/workgroup (compile time only)
; SGPRBlocks: 3
; VGPRBlocks: 3
; NumSGPRsForWavesPerEU: 30
; NumVGPRsForWavesPerEU: 16
; Occupancy: 10
; WaveLimiterHint : 1
; COMPUTE_PGM_RSRC2:SCRATCH_EN: 0
; COMPUTE_PGM_RSRC2:USER_SGPR: 6
; COMPUTE_PGM_RSRC2:TRAP_HANDLER: 0
; COMPUTE_PGM_RSRC2:TGID_X_EN: 1
; COMPUTE_PGM_RSRC2:TGID_Y_EN: 1
; COMPUTE_PGM_RSRC2:TGID_Z_EN: 1
; COMPUTE_PGM_RSRC2:TIDIG_COMP_CNT: 1
	.section	.AMDGPU.gpr_maximums,"",@progbits
	.set amdgpu.max_num_vgpr, 0
	.set amdgpu.max_num_agpr, 0
	.set amdgpu.max_num_sgpr, 0
	.section	.AMDGPU.csdata,"",@progbits
	.type	__hip_cuid_f8dde4c1510406ab,@object ; @__hip_cuid_f8dde4c1510406ab
	.section	.bss,"aw",@nobits
	.globl	__hip_cuid_f8dde4c1510406ab
__hip_cuid_f8dde4c1510406ab:
	.byte	0                               ; 0x0
	.size	__hip_cuid_f8dde4c1510406ab, 1

	.ident	"AMD clang version 22.0.0git (https://github.com/RadeonOpenCompute/llvm-project roc-7.2.4 26084 f58b06dce1f9c15707c5f808fd002e18c2accf7e)"
	.section	".note.GNU-stack","",@progbits
	.addrsig
	.addrsig_sym __hip_cuid_f8dde4c1510406ab
	.amdgpu_metadata
---
amdhsa.kernels:
  - .args:
      - .offset:         0
        .size:           1
        .value_kind:     by_value
      - .offset:         1
        .size:           1
        .value_kind:     by_value
      - .offset:         4
        .size:           4
        .value_kind:     by_value
      - .offset:         8
        .size:           8
        .value_kind:     by_value
      - .address_space:  global
        .offset:         16
        .size:           8
        .value_kind:     global_buffer
      - .offset:         24
        .size:           8
        .value_kind:     by_value
      - .offset:         32
        .size:           8
        .value_kind:     by_value
      - .offset:         40
        .size:           8
        .value_kind:     by_value
      - .address_space:  global
        .offset:         48
        .size:           8
        .value_kind:     global_buffer
      - .offset:         56
        .size:           8
        .value_kind:     by_value
      - .offset:         64
        .size:           8
        .value_kind:     by_value
      - .offset:         72
        .size:           4
        .value_kind:     by_value
    .group_segment_fixed_size: 0
    .kernarg_segment_align: 8
    .kernarg_segment_size: 76
    .language:       OpenCL C
    .language_version:
      - 2
      - 0
    .max_flat_workgroup_size: 1024
    .name:           _ZL18rocblas_spr_kernelILi64ELi16ELi2E24rocblas_internal_val_ptrIfEPKfPfEvbbiT2_T3_lllT4_lli
    .private_segment_fixed_size: 0
    .sgpr_count:     32
    .sgpr_spill_count: 0
    .symbol:         _ZL18rocblas_spr_kernelILi64ELi16ELi2E24rocblas_internal_val_ptrIfEPKfPfEvbbiT2_T3_lllT4_lli.kd
    .uniform_work_group_size: 1
    .uses_dynamic_stack: false
    .vgpr_count:     11
    .vgpr_spill_count: 0
    .wavefront_size: 64
  - .args:
      - .offset:         0
        .size:           1
        .value_kind:     by_value
      - .offset:         1
        .size:           1
        .value_kind:     by_value
      - .offset:         4
        .size:           4
        .value_kind:     by_value
      - .offset:         8
        .size:           8
        .value_kind:     by_value
      - .address_space:  global
        .offset:         16
        .size:           8
        .value_kind:     global_buffer
      - .offset:         24
        .size:           8
        .value_kind:     by_value
      - .offset:         32
        .size:           8
        .value_kind:     by_value
      - .offset:         40
        .size:           8
        .value_kind:     by_value
      - .address_space:  global
        .offset:         48
        .size:           8
        .value_kind:     global_buffer
      - .offset:         56
        .size:           8
        .value_kind:     by_value
      - .offset:         64
        .size:           8
        .value_kind:     by_value
      - .offset:         72
        .size:           4
        .value_kind:     by_value
    .group_segment_fixed_size: 0
    .kernarg_segment_align: 8
    .kernarg_segment_size: 76
    .language:       OpenCL C
    .language_version:
      - 2
      - 0
    .max_flat_workgroup_size: 1024
    .name:           _ZL18rocblas_spr_kernelILi64ELi16ELi2E24rocblas_internal_val_ptrIdEPKdPdEvbbiT2_T3_lllT4_lli
    .private_segment_fixed_size: 0
    .sgpr_count:     32
    .sgpr_spill_count: 0
    .symbol:         _ZL18rocblas_spr_kernelILi64ELi16ELi2E24rocblas_internal_val_ptrIdEPKdPdEvbbiT2_T3_lllT4_lli.kd
    .uniform_work_group_size: 1
    .uses_dynamic_stack: false
    .vgpr_count:     16
    .vgpr_spill_count: 0
    .wavefront_size: 64
  - .args:
      - .offset:         0
        .size:           1
        .value_kind:     by_value
      - .offset:         1
        .size:           1
        .value_kind:     by_value
      - .offset:         4
        .size:           4
        .value_kind:     by_value
      - .offset:         8
        .size:           8
        .value_kind:     by_value
      - .address_space:  global
        .offset:         16
        .size:           8
        .value_kind:     global_buffer
      - .offset:         24
        .size:           8
        .value_kind:     by_value
      - .offset:         32
        .size:           8
        .value_kind:     by_value
      - .offset:         40
        .size:           8
        .value_kind:     by_value
      - .address_space:  global
        .offset:         48
        .size:           8
        .value_kind:     global_buffer
      - .offset:         56
        .size:           8
        .value_kind:     by_value
      - .offset:         64
        .size:           8
        .value_kind:     by_value
      - .offset:         72
        .size:           4
        .value_kind:     by_value
    .group_segment_fixed_size: 0
    .kernarg_segment_align: 8
    .kernarg_segment_size: 76
    .language:       OpenCL C
    .language_version:
      - 2
      - 0
    .max_flat_workgroup_size: 1024
    .name:           _ZL18rocblas_spr_kernelILi64ELi16ELi2E24rocblas_internal_val_ptrI19rocblas_complex_numIfEEPKS2_PS2_EvbbiT2_T3_lllT4_lli
    .private_segment_fixed_size: 0
    .sgpr_count:     32
    .sgpr_spill_count: 0
    .symbol:         _ZL18rocblas_spr_kernelILi64ELi16ELi2E24rocblas_internal_val_ptrI19rocblas_complex_numIfEEPKS2_PS2_EvbbiT2_T3_lllT4_lli.kd
    .uniform_work_group_size: 1
    .uses_dynamic_stack: false
    .vgpr_count:     15
    .vgpr_spill_count: 0
    .wavefront_size: 64
  - .args:
      - .offset:         0
        .size:           1
        .value_kind:     by_value
      - .offset:         1
        .size:           1
        .value_kind:     by_value
      - .offset:         4
        .size:           4
        .value_kind:     by_value
      - .offset:         8
        .size:           16
        .value_kind:     by_value
      - .address_space:  global
        .offset:         24
        .size:           8
        .value_kind:     global_buffer
      - .offset:         32
        .size:           8
        .value_kind:     by_value
      - .offset:         40
        .size:           8
        .value_kind:     by_value
      - .offset:         48
        .size:           8
        .value_kind:     by_value
      - .address_space:  global
        .offset:         56
        .size:           8
        .value_kind:     global_buffer
      - .offset:         64
        .size:           8
        .value_kind:     by_value
      - .offset:         72
        .size:           8
        .value_kind:     by_value
      - .offset:         80
        .size:           4
        .value_kind:     by_value
    .group_segment_fixed_size: 0
    .kernarg_segment_align: 8
    .kernarg_segment_size: 84
    .language:       OpenCL C
    .language_version:
      - 2
      - 0
    .max_flat_workgroup_size: 1024
    .name:           _ZL18rocblas_spr_kernelILi64ELi16ELi1E24rocblas_internal_val_ptrI19rocblas_complex_numIdEEPKS2_PS2_EvbbiT2_T3_lllT4_lli
    .private_segment_fixed_size: 0
    .sgpr_count:     28
    .sgpr_spill_count: 0
    .symbol:         _ZL18rocblas_spr_kernelILi64ELi16ELi1E24rocblas_internal_val_ptrI19rocblas_complex_numIdEEPKS2_PS2_EvbbiT2_T3_lllT4_lli.kd
    .uniform_work_group_size: 1
    .uses_dynamic_stack: false
    .vgpr_count:     16
    .vgpr_spill_count: 0
    .wavefront_size: 64
  - .args:
      - .offset:         0
        .size:           1
        .value_kind:     by_value
      - .offset:         1
        .size:           1
        .value_kind:     by_value
      - .offset:         4
        .size:           4
        .value_kind:     by_value
      - .offset:         8
        .size:           8
        .value_kind:     by_value
      - .address_space:  global
        .offset:         16
        .size:           8
        .value_kind:     global_buffer
      - .offset:         24
        .size:           8
        .value_kind:     by_value
      - .offset:         32
        .size:           8
        .value_kind:     by_value
      - .offset:         40
        .size:           8
        .value_kind:     by_value
      - .address_space:  global
        .offset:         48
        .size:           8
        .value_kind:     global_buffer
      - .offset:         56
        .size:           8
        .value_kind:     by_value
      - .offset:         64
        .size:           8
        .value_kind:     by_value
      - .offset:         72
        .size:           4
        .value_kind:     by_value
    .group_segment_fixed_size: 0
    .kernarg_segment_align: 8
    .kernarg_segment_size: 76
    .language:       OpenCL C
    .language_version:
      - 2
      - 0
    .max_flat_workgroup_size: 1024
    .name:           _ZL18rocblas_spr_kernelILi64ELi16ELi2E24rocblas_internal_val_ptrIfEPKPKfPKPfEvbbiT2_T3_lllT4_lli
    .private_segment_fixed_size: 0
    .sgpr_count:     28
    .sgpr_spill_count: 0
    .symbol:         _ZL18rocblas_spr_kernelILi64ELi16ELi2E24rocblas_internal_val_ptrIfEPKPKfPKPfEvbbiT2_T3_lllT4_lli.kd
    .uniform_work_group_size: 1
    .uses_dynamic_stack: false
    .vgpr_count:     11
    .vgpr_spill_count: 0
    .wavefront_size: 64
  - .args:
      - .offset:         0
        .size:           1
        .value_kind:     by_value
      - .offset:         1
        .size:           1
        .value_kind:     by_value
      - .offset:         4
        .size:           4
        .value_kind:     by_value
      - .offset:         8
        .size:           8
        .value_kind:     by_value
      - .address_space:  global
        .offset:         16
        .size:           8
        .value_kind:     global_buffer
      - .offset:         24
        .size:           8
        .value_kind:     by_value
      - .offset:         32
        .size:           8
        .value_kind:     by_value
      - .offset:         40
        .size:           8
        .value_kind:     by_value
      - .address_space:  global
        .offset:         48
        .size:           8
        .value_kind:     global_buffer
      - .offset:         56
        .size:           8
        .value_kind:     by_value
      - .offset:         64
        .size:           8
        .value_kind:     by_value
      - .offset:         72
        .size:           4
        .value_kind:     by_value
    .group_segment_fixed_size: 0
    .kernarg_segment_align: 8
    .kernarg_segment_size: 76
    .language:       OpenCL C
    .language_version:
      - 2
      - 0
    .max_flat_workgroup_size: 1024
    .name:           _ZL18rocblas_spr_kernelILi64ELi16ELi2E24rocblas_internal_val_ptrIdEPKPKdPKPdEvbbiT2_T3_lllT4_lli
    .private_segment_fixed_size: 0
    .sgpr_count:     26
    .sgpr_spill_count: 0
    .symbol:         _ZL18rocblas_spr_kernelILi64ELi16ELi2E24rocblas_internal_val_ptrIdEPKPKdPKPdEvbbiT2_T3_lllT4_lli.kd
    .uniform_work_group_size: 1
    .uses_dynamic_stack: false
    .vgpr_count:     16
    .vgpr_spill_count: 0
    .wavefront_size: 64
  - .args:
      - .offset:         0
        .size:           1
        .value_kind:     by_value
      - .offset:         1
        .size:           1
        .value_kind:     by_value
      - .offset:         4
        .size:           4
        .value_kind:     by_value
      - .offset:         8
        .size:           8
        .value_kind:     by_value
      - .address_space:  global
        .offset:         16
        .size:           8
        .value_kind:     global_buffer
      - .offset:         24
        .size:           8
        .value_kind:     by_value
      - .offset:         32
        .size:           8
        .value_kind:     by_value
      - .offset:         40
        .size:           8
        .value_kind:     by_value
      - .address_space:  global
        .offset:         48
        .size:           8
        .value_kind:     global_buffer
      - .offset:         56
        .size:           8
        .value_kind:     by_value
      - .offset:         64
        .size:           8
        .value_kind:     by_value
      - .offset:         72
        .size:           4
        .value_kind:     by_value
    .group_segment_fixed_size: 0
    .kernarg_segment_align: 8
    .kernarg_segment_size: 76
    .language:       OpenCL C
    .language_version:
      - 2
      - 0
    .max_flat_workgroup_size: 1024
    .name:           _ZL18rocblas_spr_kernelILi64ELi16ELi2E24rocblas_internal_val_ptrI19rocblas_complex_numIfEEPKPKS2_PKPS2_EvbbiT2_T3_lllT4_lli
    .private_segment_fixed_size: 0
    .sgpr_count:     28
    .sgpr_spill_count: 0
    .symbol:         _ZL18rocblas_spr_kernelILi64ELi16ELi2E24rocblas_internal_val_ptrI19rocblas_complex_numIfEEPKPKS2_PKPS2_EvbbiT2_T3_lllT4_lli.kd
    .uniform_work_group_size: 1
    .uses_dynamic_stack: false
    .vgpr_count:     15
    .vgpr_spill_count: 0
    .wavefront_size: 64
  - .args:
      - .offset:         0
        .size:           1
        .value_kind:     by_value
      - .offset:         1
        .size:           1
        .value_kind:     by_value
      - .offset:         4
        .size:           4
        .value_kind:     by_value
      - .offset:         8
        .size:           16
        .value_kind:     by_value
      - .address_space:  global
        .offset:         24
        .size:           8
        .value_kind:     global_buffer
      - .offset:         32
        .size:           8
        .value_kind:     by_value
      - .offset:         40
        .size:           8
        .value_kind:     by_value
      - .offset:         48
        .size:           8
        .value_kind:     by_value
      - .address_space:  global
        .offset:         56
        .size:           8
        .value_kind:     global_buffer
      - .offset:         64
        .size:           8
        .value_kind:     by_value
      - .offset:         72
        .size:           8
        .value_kind:     by_value
      - .offset:         80
        .size:           4
        .value_kind:     by_value
    .group_segment_fixed_size: 0
    .kernarg_segment_align: 8
    .kernarg_segment_size: 84
    .language:       OpenCL C
    .language_version:
      - 2
      - 0
    .max_flat_workgroup_size: 1024
    .name:           _ZL18rocblas_spr_kernelILi64ELi16ELi1E24rocblas_internal_val_ptrI19rocblas_complex_numIdEEPKPKS2_PKPS2_EvbbiT2_T3_lllT4_lli
    .private_segment_fixed_size: 0
    .sgpr_count:     30
    .sgpr_spill_count: 0
    .symbol:         _ZL18rocblas_spr_kernelILi64ELi16ELi1E24rocblas_internal_val_ptrI19rocblas_complex_numIdEEPKPKS2_PKPS2_EvbbiT2_T3_lllT4_lli.kd
    .uniform_work_group_size: 1
    .uses_dynamic_stack: false
    .vgpr_count:     16
    .vgpr_spill_count: 0
    .wavefront_size: 64
amdhsa.target:   amdgcn-amd-amdhsa--gfx906
amdhsa.version:
  - 1
  - 2
...

	.end_amdgpu_metadata
